;; amdgpu-corpus repo=ROCm/aiter kind=harvested arch=n/a opt=n/a

/root/src/amdgpu-assembly/repos/ROCm__aiter/hsa/gfx942/mla/mla_a8w8_qh16_qseqlen1_gqaratio16.co:	file format elf64-amdgpu

Disassembly of section .text:

0000000000002300 <_ZN5aiter33mla_a8w8_qh16_qseqlen1_gqaratio16E>:
	s_and_b32 s1, s1, 0xffff                                   // 000000002300: 8601FF01 0000FFFF
	s_load_dwordx2 s[8:9], s[0:1], 0x0                         // 000000002308: C0060200 00000000
	s_load_dwordx2 s[12:13], s[0:1], 0x10                      // 000000002310: C0060300 00000010
	s_load_dwordx2 s[16:17], s[0:1], 0x20                      // 000000002318: C0060400 00000020
	s_load_dwordx2 s[20:21], s[0:1], 0x30                      // 000000002320: C0060500 00000030
	s_load_dwordx2 s[28:29], s[0:1], 0x40                      // 000000002328: C0060700 00000040
	s_load_dwordx2 s[24:25], s[0:1], 0x50                      // 000000002330: C0060600 00000050
	s_load_dwordx2 s[30:31], s[0:1], 0x60                      // 000000002338: C0060780 00000060
	s_load_dword s64, s[0:1], 0x70                             // 000000002340: C0021000 00000070
	s_load_dword s65, s[0:1], 0x80                             // 000000002348: C0021040 00000080
	s_load_dword s67, s[0:1], 0x90                             // 000000002350: C00210C0 00000090
	s_load_dword s66, s[0:1], 0xa0                             // 000000002358: C0021080 000000A0
	s_load_dword s68, s[0:1], 0xb0                             // 000000002360: C0021100 000000B0
	s_load_dword s69, s[0:1], 0xc0                             // 000000002368: C0021140 000000C0
	s_load_dwordx2 s[36:37], s[0:1], 0x100                     // 000000002370: C0060900 00000100
	s_load_dwordx2 s[38:39], s[0:1], 0x110                     // 000000002378: C0060980 00000110
	v_lshrrev_b32_e32 v1, 10, v0                               // 000000002380: 2002008A
	v_lshrrev_b32_e32 v2, 10, v1                               // 000000002384: 2004028A
	v_and_b32_e32 v2, 0x3ff, v2                                // 000000002388: 260404FF 000003FF
	v_and_b32_e32 v1, 0x3ff, v1                                // 000000002390: 260202FF 000003FF
	v_and_b32_e32 v0, 0x3ff, v0                                // 000000002398: 260000FF 000003FF
	v_lshrrev_b32_e32 v3, 6, v0                                // 0000000023A0: 20060086
	v_and_b32_e32 v0, 63, v0                                   // 0000000023A4: 260000BF
	s_mov_b32 s2, s2                                           // 0000000023A8: BE820002
	s_mov_b32 s3, s3                                           // 0000000023AC: BE830003
	s_mov_b32 s4, s4                                           // 0000000023B0: BE840004
	v_readfirstlane_b32 s7, v3                                 // 0000000023B4: 7E0E0503
	s_waitcnt lgkmcnt(0)                                       // 0000000023B8: BF8CC07F
	s_min_u32 s76, 16, s65                                     // 0000000023BC: 83CC4190
	s_mul_i32 s56, s3, 4                                       // 0000000023C0: 92388403
	s_and_b32 s29, s29, 0xffff                                 // 0000000023C4: 861DFF1D 0000FFFF
	s_and_b32 s31, s31, 0xffff                                 // 0000000023CC: 861FFF1F 0000FFFF
	s_add_u32 s28, s56, s28                                    // 0000000023D4: 801C1C38
	s_addc_u32 s29, 0, s29                                     // 0000000023D8: 821D1D80
	s_load_dword s47, s[28:29], 0x0                            // 0000000023DC: C0020BCE 00000000
	s_load_dword s46, s[28:29], 0x4                            // 0000000023E4: C0020B8E 00000004
	s_mul_i32 s74, 0x240, s65                                  // 0000000023EC: 924A41FF 00000240
	s_mul_i32 s56, 4, s65                                      // 0000000023F4: 92384184
	s_mov_b32 s18, s74                                         // 0000000023F8: BE92004A
	s_mov_b32 s14, s56                                         // 0000000023FC: BE8E0038
	s_mov_b32 s22, -16                                         // 000000002400: BE9600D0
	s_mov_b32 s26, -16                                         // 000000002404: BE9A00D0
	s_mov_b32 s11, 0x20000                                     // 000000002408: BE8B00FF 00020000
	s_mov_b32 s19, 0x20000                                     // 000000002410: BE9300FF 00020000
	s_mov_b32 s15, 0x20000                                     // 000000002418: BE8F00FF 00020000
	s_mov_b32 s23, 0x20000                                     // 000000002420: BE9700FF 00020000
	s_mov_b32 s27, 0x20000                                     // 000000002428: BE9B00FF 00020000
	s_and_b32 s9, s9, 0xffff                                   // 000000002430: 8609FF09 0000FFFF
	s_and_b32 s17, s17, 0xffff                                 // 000000002438: 8611FF11 0000FFFF
	s_and_b32 s13, s13, 0xffff                                 // 000000002440: 860DFF0D 0000FFFF
	s_and_b32 s21, s21, 0xffff                                 // 000000002448: 8615FF15 0000FFFF
	s_and_b32 s25, s25, 0xffff                                 // 000000002450: 8619FF19 0000FFFF
	s_and_b32 s37, s37, 0xffff                                 // 000000002458: 8625FF25 0000FFFF
	s_and_b32 s39, s39, 0xffff                                 // 000000002460: 8627FF27 0000FFFF
	s_or_b32 s9, s9, 0x40000                                   // 000000002468: 8709FF09 00040000
	s_or_b32 s17, s17, 0x40000                                 // 000000002470: 8711FF11 00040000
	s_or_b32 s13, s13, 0x40000                                 // 000000002478: 870DFF0D 00040000
	s_or_b32 s21, s21, 0x40000                                 // 000000002480: 8715FF15 00040000
	s_or_b32 s25, s25, 0x40000                                 // 000000002488: 8719FF19 00040000
	s_waitcnt lgkmcnt(0)                                       // 000000002490: BF8CC07F
	s_load_dword s40, s[36:37], 0x0                            // 000000002494: C0020A12 00000000
	s_load_dword s41, s[38:39], 0x0                            // 00000000249C: C0020A53 00000000
	s_mov_b32 s69, 0                                           // 0000000024A4: BEC50080
	s_lshr_b32 s44, 64, s69                                    // 0000000024A8: 8F2C45C0
	s_mul_i32 s73, s44, 4                                      // 0000000024AC: 9249842C
	s_mul_i32 s73, s73, s67                                    // 0000000024B0: 92494349
	s_mul_i32 s45, s4, s44                                     // 0000000024B4: 922D2C04
	s_sub_u32 s50, s46, s47                                    // 0000000024B8: 80B22F2E
	s_mul_i32 s58, 4, s65                                      // 0000000024BC: 923A4184
	s_mul_i32 s56, s67, s58                                    // 0000000024C0: 92383A43
	s_mul_i32 s56, s3, s56                                     // 0000000024C4: 92383803
	s_mul_i32 s57, s4, s58                                     // 0000000024C8: 92393A04
	s_add_u32 s56, s57, s56                                    // 0000000024CC: 80383839
	s_add_u32 s12, s56, s12                                    // 0000000024D0: 800C0C38
	s_addc_u32 s13, 0, s13                                     // 0000000024D4: 820D0D80
	s_mul_i32 s56, 4, s76                                      // 0000000024D8: 92384C84
	s_mul_i32 s56, s2, s56                                     // 0000000024DC: 92383802
	v_lshlrev_b32_e32 v16, 2, v0                               // 0000000024E0: 24200082
	v_add_u32_e64 v16, v16, s56                                // 0000000024E4: D1340010 00007110
	s_cmp_le_u32 s50, s45                                      // 0000000024EC: BF0B2D32
	s_cbranch_scc1 label_1334                                  // 0000000024F0: BF851295
	s_mul_i32 s56, s50, 4                                      // 0000000024F4: 92388432
	s_mov_b32 s26, s56                                         // 0000000024F8: BE9A0038
	s_mul_i32 s56, s47, 4                                      // 0000000024FC: 9238842F
	s_add_u32 s24, s56, s24                                    // 000000002500: 80181838
	s_addc_u32 s25, 0, s25                                     // 000000002504: 82191980
	s_mov_b32 s70, 0                                           // 000000002508: BEC60080
	s_sub_u32 s71, s50, s45                                    // 00000000250C: 80C72D32
	s_mul_i32 s33, s67, s44                                    // 000000002510: 92212C43
	s_mov_b32 s32, s71                                         // 000000002514: BEA00047
	v_cvt_f32_u32_e32 v32, s33                                 // 000000002518: 7E400C21
	s_sub_i32 s56, 0, s33                                      // 00000000251C: 81B82180
	v_rcp_iflag_f32_e32 v32, v32                               // 000000002520: 7E404720
	s_nop 0                                                    // 000000002524: BF800000
	v_mul_f32_e32 v32, 0x4f7ffffe, v32                         // 000000002528: 0A4040FF 4F7FFFFE
	v_cvt_u32_f32_e32 v32, v32                                 // 000000002530: 7E400F20
	v_mul_lo_u32 v33, s56, v32                                 // 000000002534: D2850021 00024038
	v_mul_hi_u32 v33, v32, v33                                 // 00000000253C: D2860021 00024320
	v_add_u32_e32 v32, v32, v33                                // 000000002544: 68404320
	v_mul_hi_u32 v32, s32, v32                                 // 000000002548: D2860020 00024020
	v_mul_lo_u32 v33, v32, s33                                 // 000000002550: D2850021 00004320
	v_sub_u32_e32 v35, s32, v33                                // 000000002558: 6A464220
	v_add_u32_e32 v34, 1, v32                                  // 00000000255C: 68444081
	v_cmp_le_u32_e32 vcc, s33, v35                             // 000000002560: 7D964621
	v_subrev_u32_e32 v33, s33, v35                             // 000000002564: 6C424621
	s_nop 0                                                    // 000000002568: BF800000
	v_cndmask_b32_e32 v32, v32, v34, vcc                       // 00000000256C: 00404520
	v_cndmask_b32_e32 v35, v35, v33, vcc                       // 000000002570: 00464323
	v_add_u32_e32 v33, 1, v32                                  // 000000002574: 68424081
	v_cmp_le_u32_e32 vcc, s33, v35                             // 000000002578: 7D964621
	s_nop 1                                                    // 00000000257C: BF800001
	v_cndmask_b32_e32 v35, v32, v33, vcc                       // 000000002580: 00464320
	s_nop 3                                                    // 000000002584: BF800003
	v_readfirstlane_b32 s34, v35                               // 000000002588: 7E440523
	s_nop 3                                                    // 00000000258C: BF800003
	s_mov_b32 s71, s34                                         // 000000002590: BEC70022
	s_mul_i32 s56, s71, s33                                    // 000000002594: 92382147
	s_sub_u32 s56, s32, s56                                    // 000000002598: 80B83820
	s_mov_b32 s57, 0                                           // 00000000259C: BEB90080
	s_cmp_lt_u32 s56, s44                                      // 0000000025A0: BF0A2C38
	s_cselect_b32 s57, s57, 1                                  // 0000000025A4: 85398139
	s_add_u32 s71, s57, s71                                    // 0000000025A8: 80474739
	s_cmpk_eq_u32 s57, 0x1                                     // 0000000025AC: B4390001
	s_cselect_b32 s49, 0, s56                                  // 0000000025B0: 85313880
	s_mov_b32 s48, s49                                         // 0000000025B4: BEB00031
	v_lshrrev_b32_e32 v32, 3, v0                               // 0000000025B8: 20400083
	v_and_b32_e32 v33, 1, v32                                  // 0000000025BC: 26424081
	v_lshlrev_b32_e32 v26, 5, v33                              // 0000000025C0: 24344285
	v_lshrrev_b32_e32 v32, 1, v32                              // 0000000025C4: 20404081
	v_lshlrev_b32_e32 v32, 3, v32                              // 0000000025C8: 24404083
	v_add_u32_e32 v26, v26, v32                                // 0000000025CC: 6834411A
	v_and_b32_e32 v32, 7, v0                                   // 0000000025D0: 26400087
	v_add_u32_e32 v26, v26, v32                                // 0000000025D4: 6834411A
	v_add_u32_e32 v26, s45, v26                                // 0000000025D8: 6834342D
	v_lshlrev_b32_e32 v26, 2, v26                              // 0000000025DC: 24343482
	buffer_load_dword v24, v26, s[24:27], 0 offen              // 0000000025E0: E0501000 8006181A
	v_add_u32_e32 v26, s73, v26                                // 0000000025E8: 68343449
	buffer_load_dword v25, v26, s[24:27], 0 offen              // 0000000025EC: E0501000 8006191A
	v_add_u32_e32 v26, s73, v26                                // 0000000025F4: 68343449
	s_mul_i32 s56, s3, s66                                     // 0000000025F8: 92384203
	s_add_u32 s16, s56, s16                                    // 0000000025FC: 80101038
	s_addc_u32 s17, 0, s17                                     // 000000002600: 82111180
	s_mul_i32 s56, s7, 0xc20                                   // 000000002604: 9238FF07 00000C20
	s_add_u32 m0, 0, s56                                       // 00000000260C: 807C3880
	s_mul_i32 s56, s7, 0x240                                   // 000000002610: 9238FF07 00000240
	v_lshlrev_b32_e32 v32, 2, v0                               // 000000002618: 24400082
	v_add_u32_e64 v32, v32, s56                                // 00000000261C: D1340020 00007120
	s_mul_i32 s56, 0x240, s76                                  // 000000002624: 92384CFF 00000240
	s_mul_i32 s56, s2, s56                                     // 00000000262C: 92383802
	v_add_u32_e64 v32, v32, s56                                // 000000002630: D1340020 00007120
	buffer_load_dword v32, s[16:19], 0 offen lds               // 000000002638: E0511000 80040020
	buffer_load_dword v32, s[16:19], 0 offen offset:256 lds    // 000000002640: E0511100 80040020
	buffer_load_dword v32, s[16:19], 0 offen offset:512 lds    // 000000002648: E0511200 80040020
	s_add_u32 m0, m0, 0x300                                    // 000000002650: 807CFF7C 00000300
	v_add_u32_e32 v32, 0x900, v32                              // 000000002658: 684040FF 00000900
	buffer_load_dword v32, s[16:19], 0 offen lds               // 000000002660: E0511000 80040020
	buffer_load_dword v32, s[16:19], 0 offen offset:256 lds    // 000000002668: E0511100 80040020
	buffer_load_dword v32, s[16:19], 0 offen offset:512 lds    // 000000002670: E0511200 80040020
	s_add_u32 m0, m0, 0x300                                    // 000000002678: 807CFF7C 00000300
	v_add_u32_e32 v32, 0x900, v32                              // 000000002680: 684040FF 00000900
	buffer_load_dword v32, s[16:19], 0 offen lds               // 000000002688: E0511000 80040020
	buffer_load_dword v32, s[16:19], 0 offen offset:256 lds    // 000000002690: E0511100 80040020
	buffer_load_dword v32, s[16:19], 0 offen offset:512 lds    // 000000002698: E0511200 80040020
	s_add_u32 m0, m0, 0x300                                    // 0000000026A0: 807CFF7C 00000300
	v_add_u32_e32 v32, 0x900, v32                              // 0000000026A8: 684040FF 00000900
	buffer_load_dword v32, s[16:19], 0 offen lds               // 0000000026B0: E0511000 80040020
	buffer_load_dword v32, s[16:19], 0 offen offset:256 lds    // 0000000026B8: E0511100 80040020
	buffer_load_dword v32, s[16:19], 0 offen offset:512 lds    // 0000000026C0: E0511200 80040020
	s_add_u32 m0, m0, 0x300                                    // 0000000026C8: 807CFF7C 00000300
	v_add_u32_e32 v32, 0x900, v32                              // 0000000026D0: 684040FF 00000900
	v_mov_b32_e32 v10, s68                                     // 0000000026D8: 7E140244
	s_mov_b32 s52, 0x7060302                                   // 0000000026DC: BEB400FF 07060302
	s_mov_b32 s53, 0x5040100                                   // 0000000026E4: BEB500FF 05040100
	s_mov_b32 s54, 0x5010400                                   // 0000000026EC: BEB600FF 05010400
	s_mov_b32 s55, 0x7030602                                   // 0000000026F4: BEB700FF 07030602
	s_mul_i32 s51, s7, 4                                       // 0000000026FC: 92338407
	s_mov_b32 s6, 0x3fb8aa3b                                   // 000000002700: BE8600FF 3FB8AA3B
	v_mov_b32_e32 v33, s6                                      // 000000002708: 7E420206
	v_mov_b32_e32 v32, s64                                     // 00000000270C: 7E400240
	v_mul_f32_e32 v32, s6, v32                                 // 000000002710: 0A404006
	v_rcp_f32_e32 v33, v33                                     // 000000002714: 7E424521
	v_mov_b32_e32 v12, 0xff800000                              // 000000002718: 7E1802FF FF800000
	v_mov_b32_e32 v11, 0xff800000                              // 000000002720: 7E1602FF FF800000
	v_mov_b32_e32 v18, 0                                       // 000000002728: 7E240280
	v_mov_b32_e32 v14, 0                                       // 00000000272C: 7E1C0280
	v_mov_b32_e32 v29, 0xffff0000                              // 000000002730: 7E3A02FF FFFF0000
	v_mov_b32_e32 v30, 0x7fff0000                              // 000000002738: 7E3C02FF 7FFF0000
	v_mov_b32_e32 v31, 0x7fff                                  // 000000002740: 7E3E02FF 00007FFF
	v_readfirstlane_b32 s5, v32                                // 000000002748: 7E0A0520
	v_readfirstlane_b32 s63, v33                               // 00000000274C: 7E7E0521
	s_waitcnt lgkmcnt(0)                                       // 000000002750: BF8CC07F
	v_mov_b32_e32 v32, s40                                     // 000000002754: 7E400228
	v_mul_f32_e32 v32, s41, v32                                // 000000002758: 0A404029
	v_mul_f32_e32 v33, s5, v32                                 // 00000000275C: 0A424005
	v_mul_f32_e32 v35, s64, v32                                // 000000002760: 0A464040
	v_readfirstlane_b32 s5, v33                                // 000000002764: 7E0A0521
	v_readfirstlane_b32 s64, v35                               // 000000002768: 7E800523
	v_and_b32_e32 v4, 15, v0                                   // 00000000276C: 2608008F
	v_lshlrev_b32_e32 v4, 2, v4                                // 000000002770: 24080882
	v_lshlrev_b32_e32 v5, 2, v0                                // 000000002774: 240A0082
	s_mul_i32 s56, 0x100, s7                                   // 000000002778: 923807FF 00000100
	v_add_u32_e32 v5, s56, v5                                  // 000000002780: 680A0A38
	v_and_b32_e32 v32, 15, v0                                  // 000000002784: 2640008F
	v_mul_i32_i24_e32 v32, 18, v32                             // 000000002788: 0C404092
	v_lshrrev_b32_e32 v33, 4, v0                               // 00000000278C: 20420084
	v_lshlrev_b32_e32 v33, 1, v33                              // 000000002790: 24424281
	v_add_u32_e32 v6, v33, v32                                 // 000000002794: 680C4121
	v_lshlrev_b32_e32 v6, 2, v6                                // 000000002798: 240C0C82
	v_and_b32_e32 v32, 15, v0                                  // 00000000279C: 2640008F
	v_mul_i32_i24_e32 v32, 18, v32                             // 0000000027A0: 0C404092
	v_lshrrev_b32_e32 v33, 4, v0                               // 0000000027A4: 20420084
	s_mul_i32 s56, s7, 4                                       // 0000000027A8: 92388407
	v_add_u32_e32 v33, s56, v33                                // 0000000027AC: 68424238
	v_add_u32_e32 v7, v33, v32                                 // 0000000027B0: 680E4121
	v_lshlrev_b32_e32 v7, 2, v7                                // 0000000027B4: 240E0E82
	v_and_b32_e32 v32, 15, v0                                  // 0000000027B8: 2640008F
	v_lshlrev_b32_e32 v2, 2, v32                               // 0000000027BC: 24044082
	v_lshlrev_b32_e32 v3, 2, v32                               // 0000000027C0: 24064082
	s_mul_i32 s56, s7, 0x80                                    // 0000000027C4: 9238FF07 00000080
	v_add_u32_e32 v2, s56, v2                                  // 0000000027CC: 68040438
	s_mul_i32 s56, 4, 0x80                                     // 0000000027D0: 9238FF84 00000080
	v_add_u32_e32 v3, s56, v3                                  // 0000000027D8: 68060638
	s_waitcnt vmcnt(12)                                        // 0000000027DC: BF8C0F7C
	v_mul_u32_u24_dpp v40, v24, v10 row_newbcast:0 row_mask:0xf bank_mask:0xf// 0000000027E0: 105014FA FF015018
	v_mul_u32_u24_dpp v41, v24, v10 row_newbcast:1 row_mask:0xf bank_mask:0xf// 0000000027E8: 105214FA FF015118
	v_mul_u32_u24_dpp v42, v24, v10 row_newbcast:2 row_mask:0xf bank_mask:0xf// 0000000027F0: 105414FA FF015218
	v_mul_u32_u24_dpp v43, v24, v10 row_newbcast:3 row_mask:0xf bank_mask:0xf// 0000000027F8: 105614FA FF015318
	v_mul_u32_u24_dpp v44, v24, v10 row_newbcast:4 row_mask:0xf bank_mask:0xf// 000000002800: 105814FA FF015418
	v_mul_u32_u24_dpp v45, v24, v10 row_newbcast:5 row_mask:0xf bank_mask:0xf// 000000002808: 105A14FA FF015518
	v_mul_u32_u24_dpp v46, v24, v10 row_newbcast:6 row_mask:0xf bank_mask:0xf// 000000002810: 105C14FA FF015618
	v_mul_u32_u24_dpp v47, v24, v10 row_newbcast:7 row_mask:0xf bank_mask:0xf// 000000002818: 105E14FA FF015718
	v_mul_u32_u24_dpp v48, v24, v10 row_newbcast:8 row_mask:0xf bank_mask:0xf// 000000002820: 106014FA FF015818
	v_mul_u32_u24_dpp v49, v24, v10 row_newbcast:9 row_mask:0xf bank_mask:0xf// 000000002828: 106214FA FF015918
	v_mul_u32_u24_dpp v50, v24, v10 row_newbcast:10 row_mask:0xf bank_mask:0xf// 000000002830: 106414FA FF015A18
	v_mul_u32_u24_dpp v51, v24, v10 row_newbcast:11 row_mask:0xf bank_mask:0xf// 000000002838: 106614FA FF015B18
	v_mul_u32_u24_dpp v52, v24, v10 row_newbcast:12 row_mask:0xf bank_mask:0xf// 000000002840: 106814FA FF015C18
	v_mul_u32_u24_dpp v53, v24, v10 row_newbcast:13 row_mask:0xf bank_mask:0xf// 000000002848: 106A14FA FF015D18
	v_mul_u32_u24_dpp v54, v24, v10 row_newbcast:14 row_mask:0xf bank_mask:0xf// 000000002850: 106C14FA FF015E18
	v_mul_u32_u24_dpp v55, v24, v10 row_newbcast:15 row_mask:0xf bank_mask:0xf// 000000002858: 106E14FA FF015F18
	s_mov_b32 s56, m0                                          // 000000002860: BEB8007C
	s_set_gpr_idx_on s51, gpr_idx(SRC0)                        // 000000002864: BF110133
	v_add_u32_e32 v36, v40, v3                                 // 000000002868: 68480728
	v_add_u32_e32 v37, v41, v3                                 // 00000000286C: 684A0729
	v_add_u32_e32 v38, v42, v3                                 // 000000002870: 684C072A
	v_add_u32_e32 v39, v43, v3                                 // 000000002874: 684E072B
	s_set_gpr_idx_off                                          // 000000002878: BF9C0000
	s_mov_b32 m0, s56                                          // 00000000287C: BEFC0038
	v_add_u32_e32 v40, v40, v2                                 // 000000002880: 68500528
	v_add_u32_e32 v41, v41, v2                                 // 000000002884: 68520529
	v_add_u32_e32 v42, v42, v2                                 // 000000002888: 6854052A
	v_add_u32_e32 v43, v43, v2                                 // 00000000288C: 6856052B
	v_add_u32_e32 v44, v44, v2                                 // 000000002890: 6858052C
	v_add_u32_e32 v45, v45, v2                                 // 000000002894: 685A052D
	v_add_u32_e32 v46, v46, v2                                 // 000000002898: 685C052E
	v_add_u32_e32 v47, v47, v2                                 // 00000000289C: 685E052F
	v_add_u32_e32 v48, v48, v2                                 // 0000000028A0: 68600530
	v_add_u32_e32 v49, v49, v2                                 // 0000000028A4: 68620531
	v_add_u32_e32 v50, v50, v2                                 // 0000000028A8: 68640532
	v_add_u32_e32 v51, v51, v2                                 // 0000000028AC: 68660533
	v_add_u32_e32 v52, v52, v2                                 // 0000000028B0: 68680534
	v_add_u32_e32 v53, v53, v2                                 // 0000000028B4: 686A0535
	v_add_u32_e32 v54, v54, v2                                 // 0000000028B8: 686C0536
	v_add_u32_e32 v55, v55, v2                                 // 0000000028BC: 686E0537
	buffer_load_dword v124, v40, s[20:23], 0 offen             // 0000000028C0: E0501000 80057C28
	buffer_load_dword v125, v40, s[20:23], 0 offen offset:64   // 0000000028C8: E0501040 80057D28
	buffer_load_dword v126, v41, s[20:23], 0 offen             // 0000000028D0: E0501000 80057E29
	buffer_load_dword v127, v41, s[20:23], 0 offen offset:64   // 0000000028D8: E0501040 80057F29
	buffer_load_dword v128, v42, s[20:23], 0 offen             // 0000000028E0: E0501000 8005802A
	buffer_load_dword v129, v42, s[20:23], 0 offen offset:64   // 0000000028E8: E0501040 8005812A
	buffer_load_dword v130, v43, s[20:23], 0 offen             // 0000000028F0: E0501000 8005822B
	buffer_load_dword v131, v43, s[20:23], 0 offen offset:64   // 0000000028F8: E0501040 8005832B
	buffer_load_dword v132, v44, s[20:23], 0 offen             // 000000002900: E0501000 8005842C
	buffer_load_dword v133, v44, s[20:23], 0 offen offset:64   // 000000002908: E0501040 8005852C
	buffer_load_dword v134, v45, s[20:23], 0 offen             // 000000002910: E0501000 8005862D
	buffer_load_dword v135, v45, s[20:23], 0 offen offset:64   // 000000002918: E0501040 8005872D
	buffer_load_dword v136, v46, s[20:23], 0 offen             // 000000002920: E0501000 8005882E
	buffer_load_dword v137, v46, s[20:23], 0 offen offset:64   // 000000002928: E0501040 8005892E
	buffer_load_dword v138, v47, s[20:23], 0 offen             // 000000002930: E0501000 80058A2F
	buffer_load_dword v139, v47, s[20:23], 0 offen offset:64   // 000000002938: E0501040 80058B2F
	buffer_load_dword v140, v48, s[20:23], 0 offen             // 000000002940: E0501000 80058C30
	buffer_load_dword v141, v48, s[20:23], 0 offen offset:64   // 000000002948: E0501040 80058D30
	buffer_load_dword v142, v49, s[20:23], 0 offen             // 000000002950: E0501000 80058E31
	buffer_load_dword v143, v49, s[20:23], 0 offen offset:64   // 000000002958: E0501040 80058F31
	buffer_load_dword v144, v50, s[20:23], 0 offen             // 000000002960: E0501000 80059032
	buffer_load_dword v145, v50, s[20:23], 0 offen offset:64   // 000000002968: E0501040 80059132
	buffer_load_dword v146, v51, s[20:23], 0 offen             // 000000002970: E0501000 80059233
	buffer_load_dword v147, v51, s[20:23], 0 offen offset:64   // 000000002978: E0501040 80059333
	;; [unrolled: 2-line block ×4, first 2 shown]
	buffer_load_dword v152, v54, s[20:23], 0 offen             // 0000000029A0: E0501000 80059836
	buffer_load_dword v153, v54, s[20:23], 0 offen offset:64   // 0000000029A8: E0501040 80059936
	buffer_load_dword v154, v55, s[20:23], 0 offen             // 0000000029B0: E0501000 80059A37
	buffer_load_dword v155, v55, s[20:23], 0 offen offset:64   // 0000000029B8: E0501040 80059B37
	buffer_load_dword v72, v36, s[20:23], 0 offen              // 0000000029C0: E0501000 80054824
	buffer_load_dword v73, v37, s[20:23], 0 offen              // 0000000029C8: E0501000 80054925
	buffer_load_dword v74, v38, s[20:23], 0 offen              // 0000000029D0: E0501000 80054A26
	buffer_load_dword v75, v39, s[20:23], 0 offen              // 0000000029D8: E0501000 80054B27
	buffer_load_dword v24, v26, s[24:27], 0 offen              // 0000000029E0: E0501000 8006181A
	v_add_u32_e32 v26, s73, v26                                // 0000000029E8: 68343449
	v_lshrrev_b32_e32 v32, 4, v0                               // 0000000029EC: 20400084
	v_lshlrev_b32_e32 v33, 2, v32                              // 0000000029F0: 24424082
	v_and_b32_e32 v32, 15, v0                                  // 0000000029F4: 2640008F
	v_lshrrev_b32_e32 v34, 2, v32                              // 0000000029F8: 20444082
	v_mul_i32_i24_e32 v34, 0xc0, v34                           // 0000000029FC: 0C4444FF 000000C0
	v_add_u32_e32 v33, v34, v33                                // 000000002A04: 68424322
	v_and_b32_e32 v32, 3, v0                                   // 000000002A08: 26400083
	v_mul_i32_i24_e32 v34, 0x308, v32                          // 000000002A0C: 0C4440FF 00000308
	v_add_u32_e32 v33, v34, v33                                // 000000002A14: 68424322
	v_lshlrev_b32_e32 v1, 2, v33                               // 000000002A18: 24024282
	s_waitcnt vmcnt(37) lgkmcnt(0)                             // 000000002A1C: BF8C8075
	s_barrier                                                  // 000000002A20: BF8A0000
	ds_read_b128 a[0:3], v1                                    // 000000002A24: DBFE0000 00000001
	ds_read_b128 a[4:7], v1 offset:64                          // 000000002A2C: DBFE0040 04000001
	ds_read_b128 a[8:11], v1 offset:128                        // 000000002A34: DBFE0080 08000001
	ds_read_b128 a[12:15], v1 offset:192                       // 000000002A3C: DBFE00C0 0C000001
	ds_read_b128 a[16:19], v1 offset:256                       // 000000002A44: DBFE0100 10000001
	ds_read_b128 a[20:23], v1 offset:320                       // 000000002A4C: DBFE0140 14000001
	ds_read_b128 a[24:27], v1 offset:384                       // 000000002A54: DBFE0180 18000001
	ds_read_b128 a[28:31], v1 offset:448                       // 000000002A5C: DBFE01C0 1C000001
	ds_read_b128 a[32:35], v1 offset:512                       // 000000002A64: DBFE0200 20000001
	v_mov_b32_e32 v92, 0                                       // 000000002A6C: 7EB80280
	v_mov_b32_e32 v93, 0                                       // 000000002A70: 7EBA0280
	v_mov_b32_e32 v94, 0                                       // 000000002A74: 7EBC0280
	v_mov_b32_e32 v95, 0                                       // 000000002A78: 7EBE0280
	v_mov_b32_e32 v96, 0                                       // 000000002A7C: 7EC00280
	v_mov_b32_e32 v97, 0                                       // 000000002A80: 7EC20280
	v_mov_b32_e32 v98, 0                                       // 000000002A84: 7EC40280
	v_mov_b32_e32 v99, 0                                       // 000000002A88: 7EC60280
	v_mov_b32_e32 v100, 0                                      // 000000002A8C: 7EC80280
	v_mov_b32_e32 v101, 0                                      // 000000002A90: 7ECA0280
	v_mov_b32_e32 v102, 0                                      // 000000002A94: 7ECC0280
	v_mov_b32_e32 v103, 0                                      // 000000002A98: 7ECE0280
	v_mov_b32_e32 v104, 0                                      // 000000002A9C: 7ED00280
	v_mov_b32_e32 v105, 0                                      // 000000002AA0: 7ED20280
	v_mov_b32_e32 v106, 0                                      // 000000002AA4: 7ED40280
	v_mov_b32_e32 v107, 0                                      // 000000002AA8: 7ED60280
	v_mov_b32_e32 v108, 0                                      // 000000002AAC: 7ED80280
	v_mov_b32_e32 v109, 0                                      // 000000002AB0: 7EDA0280
	v_mov_b32_e32 v110, 0                                      // 000000002AB4: 7EDC0280
	v_mov_b32_e32 v111, 0                                      // 000000002AB8: 7EDE0280
	v_mov_b32_e32 v112, 0                                      // 000000002ABC: 7EE00280
	v_mov_b32_e32 v113, 0                                      // 000000002AC0: 7EE20280
	v_mov_b32_e32 v114, 0                                      // 000000002AC4: 7EE40280
	v_mov_b32_e32 v115, 0                                      // 000000002AC8: 7EE60280
	v_mov_b32_e32 v116, 0                                      // 000000002ACC: 7EE80280
	v_mov_b32_e32 v117, 0                                      // 000000002AD0: 7EEA0280
	v_mov_b32_e32 v118, 0                                      // 000000002AD4: 7EEC0280
	v_mov_b32_e32 v119, 0                                      // 000000002AD8: 7EEE0280
	v_mov_b32_e32 v120, 0                                      // 000000002ADC: 7EF00280
	v_mov_b32_e32 v121, 0                                      // 000000002AE0: 7EF20280
	v_mov_b32_e32 v122, 0                                      // 000000002AE4: 7EF40280
	v_mov_b32_e32 v123, 0                                      // 000000002AE8: 7EF60280
	v_lshrrev_b32_e32 v32, 4, v0                               // 000000002AEC: 20400084
	v_mul_i32_i24_e32 v33, 0x100, v32                          // 000000002AF0: 0C4240FF 00000100
	v_and_b32_e32 v32, 15, v0                                  // 000000002AF8: 2640008F
	v_mul_i32_i24_e32 v34, 1, v32                              // 000000002AFC: 0C444081
	v_add_u32_e32 v20, v34, v33                                // 000000002B00: 68284322
	s_mul_i32 s56, s7, 32                                      // 000000002B04: 9238A007
	v_add_u32_e32 v20, s56, v20                                // 000000002B08: 68282838
	v_lshlrev_b32_e32 v20, 2, v20                              // 000000002B0C: 24282882
	v_lshrrev_b32_e32 v32, 4, v0                               // 000000002B10: 20400084
	v_mul_i32_i24_e32 v33, 0x90, v32                           // 000000002B14: 0C4240FF 00000090
	v_and_b32_e32 v34, 15, v0                                  // 000000002B1C: 2644008F
	v_add_u32_e32 v21, v34, v33                                // 000000002B20: 682A4322
	s_and_b32 s56, 1, s7                                       // 000000002B24: 86380781
	s_mul_i32 s56, s56, 0x48                                   // 000000002B28: 9238FF38 00000048
	s_lshr_b32 s57, s7, 1                                      // 000000002B30: 8F398107
	s_mul_i32 s57, s57, 0x240                                  // 000000002B34: 9239FF39 00000240
	s_add_u32 s56, s56, s57                                    // 000000002B3C: 80383938
	v_add_u32_e32 v21, s56, v21                                // 000000002B40: 682A2A38
	v_lshlrev_b32_e32 v21, 2, v21                              // 000000002B44: 242A2A82
	v_lshrrev_b32_e32 v32, 4, v0                               // 000000002B48: 20400084
	v_mul_i32_i24_e32 v33, 4, v32                              // 000000002B4C: 0C424084
	v_and_b32_e32 v32, 15, v0                                  // 000000002B50: 2640008F
	v_and_b32_e32 v34, 3, v32                                  // 000000002B54: 26444083
	v_mul_i32_i24_e32 v34, 0x408, v34                          // 000000002B58: 0C4444FF 00000408
	v_add_u32_e32 v22, v34, v33                                // 000000002B60: 682C4322
	v_lshrrev_b32_e32 v32, 2, v32                              // 000000002B64: 20404082
	v_mul_i32_i24_e32 v32, 0x80, v32                           // 000000002B68: 0C4040FF 00000080
	v_add_u32_e32 v22, v32, v22                                // 000000002B70: 682C2D20
	s_and_b32 s56, 1, s7                                       // 000000002B74: 86380781
	s_mul_i32 s56, s56, 0x200                                  // 000000002B78: 9238FF38 00000200
	v_add_u32_e32 v22, s56, v22                                // 000000002B80: 682C2C38
	v_lshlrev_b32_e32 v22, 2, v22                              // 000000002B84: 242C2C82
	v_lshrrev_b32_e32 v32, 4, v0                               // 000000002B88: 20400084
	v_mul_i32_i24_e32 v33, 4, v32                              // 000000002B8C: 0C424084
	v_and_b32_e32 v34, 15, v0                                  // 000000002B90: 2644008F
	v_mul_i32_i24_e32 v34, 18, v34                             // 000000002B94: 0C444492
	v_add_u32_e32 v23, v34, v33                                // 000000002B98: 682E4322
	s_mul_i32 s56, s7, 0x120                                   // 000000002B9C: 9238FF07 00000120
	v_add_u32_e32 v23, s56, v23                                // 000000002BA4: 682E2E38
	v_lshlrev_b32_e32 v23, 2, v23                              // 000000002BA8: 242E2E82
	v_mul_u32_u24_dpp v40, v25, v10 row_newbcast:0 row_mask:0xf bank_mask:0xf// 000000002BAC: 105014FA FF015019
	v_mul_u32_u24_dpp v41, v25, v10 row_newbcast:1 row_mask:0xf bank_mask:0xf// 000000002BB4: 105214FA FF015119
	v_mul_u32_u24_dpp v42, v25, v10 row_newbcast:2 row_mask:0xf bank_mask:0xf// 000000002BBC: 105414FA FF015219
	v_mul_u32_u24_dpp v43, v25, v10 row_newbcast:3 row_mask:0xf bank_mask:0xf// 000000002BC4: 105614FA FF015319
	v_mul_u32_u24_dpp v44, v25, v10 row_newbcast:4 row_mask:0xf bank_mask:0xf// 000000002BCC: 105814FA FF015419
	v_mul_u32_u24_dpp v45, v25, v10 row_newbcast:5 row_mask:0xf bank_mask:0xf// 000000002BD4: 105A14FA FF015519
	v_mul_u32_u24_dpp v46, v25, v10 row_newbcast:6 row_mask:0xf bank_mask:0xf// 000000002BDC: 105C14FA FF015619
	v_mul_u32_u24_dpp v47, v25, v10 row_newbcast:7 row_mask:0xf bank_mask:0xf// 000000002BE4: 105E14FA FF015719
	v_mul_u32_u24_dpp v48, v25, v10 row_newbcast:8 row_mask:0xf bank_mask:0xf// 000000002BEC: 106014FA FF015819
	v_mul_u32_u24_dpp v49, v25, v10 row_newbcast:9 row_mask:0xf bank_mask:0xf// 000000002BF4: 106214FA FF015919
	v_mul_u32_u24_dpp v50, v25, v10 row_newbcast:10 row_mask:0xf bank_mask:0xf// 000000002BFC: 106414FA FF015A19
	v_mul_u32_u24_dpp v51, v25, v10 row_newbcast:11 row_mask:0xf bank_mask:0xf// 000000002C04: 106614FA FF015B19
	v_mul_u32_u24_dpp v52, v25, v10 row_newbcast:12 row_mask:0xf bank_mask:0xf// 000000002C0C: 106814FA FF015C19
	v_mul_u32_u24_dpp v53, v25, v10 row_newbcast:13 row_mask:0xf bank_mask:0xf// 000000002C14: 106A14FA FF015D19
	v_mul_u32_u24_dpp v54, v25, v10 row_newbcast:14 row_mask:0xf bank_mask:0xf// 000000002C1C: 106C14FA FF015E19
	v_mul_u32_u24_dpp v55, v25, v10 row_newbcast:15 row_mask:0xf bank_mask:0xf// 000000002C24: 106E14FA FF015F19
	s_mov_b32 s56, m0                                          // 000000002C2C: BEB8007C
	s_set_gpr_idx_on s51, gpr_idx(SRC0)                        // 000000002C30: BF110133
	v_add_u32_e32 v36, v40, v3                                 // 000000002C34: 68480728
	v_add_u32_e32 v37, v41, v3                                 // 000000002C38: 684A0729
	v_add_u32_e32 v38, v42, v3                                 // 000000002C3C: 684C072A
	v_add_u32_e32 v39, v43, v3                                 // 000000002C40: 684E072B
	s_set_gpr_idx_off                                          // 000000002C44: BF9C0000
	s_mov_b32 m0, s56                                          // 000000002C48: BEFC0038
	v_add_u32_e32 v40, v40, v2                                 // 000000002C4C: 68500528
	v_add_u32_e32 v41, v41, v2                                 // 000000002C50: 68520529
	v_add_u32_e32 v42, v42, v2                                 // 000000002C54: 6854052A
	v_add_u32_e32 v43, v43, v2                                 // 000000002C58: 6856052B
	v_add_u32_e32 v44, v44, v2                                 // 000000002C5C: 6858052C
	v_add_u32_e32 v45, v45, v2                                 // 000000002C60: 685A052D
	v_add_u32_e32 v46, v46, v2                                 // 000000002C64: 685C052E
	v_add_u32_e32 v47, v47, v2                                 // 000000002C68: 685E052F
	v_add_u32_e32 v48, v48, v2                                 // 000000002C6C: 68600530
	v_add_u32_e32 v49, v49, v2                                 // 000000002C70: 68620531
	v_add_u32_e32 v50, v50, v2                                 // 000000002C74: 68640532
	v_add_u32_e32 v51, v51, v2                                 // 000000002C78: 68660533
	v_add_u32_e32 v52, v52, v2                                 // 000000002C7C: 68680534
	v_add_u32_e32 v53, v53, v2                                 // 000000002C80: 686A0535
	v_add_u32_e32 v54, v54, v2                                 // 000000002C84: 686C0536
	v_add_u32_e32 v55, v55, v2                                 // 000000002C88: 686E0537
	buffer_load_dword v25, v26, s[24:27], 0 offen              // 000000002C8C: E0501000 8006191A
	v_add_u32_e32 v26, s73, v26                                // 000000002C94: 68343449
	buffer_load_dword v156, v40, s[20:23], 0 offen             // 000000002C98: E0501000 80059C28
	buffer_load_dword v157, v40, s[20:23], 0 offen offset:64   // 000000002CA0: E0501040 80059D28
	buffer_load_dword v158, v41, s[20:23], 0 offen             // 000000002CA8: E0501000 80059E29
	buffer_load_dword v159, v41, s[20:23], 0 offen offset:64   // 000000002CB0: E0501040 80059F29
	buffer_load_dword v160, v42, s[20:23], 0 offen             // 000000002CB8: E0501000 8005A02A
	buffer_load_dword v161, v42, s[20:23], 0 offen offset:64   // 000000002CC0: E0501040 8005A12A
	buffer_load_dword v162, v43, s[20:23], 0 offen             // 000000002CC8: E0501000 8005A22B
	buffer_load_dword v163, v43, s[20:23], 0 offen offset:64   // 000000002CD0: E0501040 8005A32B
	buffer_load_dword v164, v44, s[20:23], 0 offen             // 000000002CD8: E0501000 8005A42C
	buffer_load_dword v165, v44, s[20:23], 0 offen offset:64   // 000000002CE0: E0501040 8005A52C
	buffer_load_dword v166, v45, s[20:23], 0 offen             // 000000002CE8: E0501000 8005A62D
	buffer_load_dword v167, v45, s[20:23], 0 offen offset:64   // 000000002CF0: E0501040 8005A72D
	buffer_load_dword v168, v46, s[20:23], 0 offen             // 000000002CF8: E0501000 8005A82E
	buffer_load_dword v169, v46, s[20:23], 0 offen offset:64   // 000000002D00: E0501040 8005A92E
	buffer_load_dword v170, v47, s[20:23], 0 offen             // 000000002D08: E0501000 8005AA2F
	buffer_load_dword v171, v47, s[20:23], 0 offen offset:64   // 000000002D10: E0501040 8005AB2F
	buffer_load_dword v80, v36, s[20:23], 0 offen              // 000000002D18: E0501000 80055024
	buffer_load_dword v81, v37, s[20:23], 0 offen              // 000000002D20: E0501000 80055125
	buffer_load_dword v82, v38, s[20:23], 0 offen              // 000000002D28: E0501000 80055226
	buffer_load_dword v83, v39, s[20:23], 0 offen              // 000000002D30: E0501000 80055327
	buffer_load_dword v172, v48, s[20:23], 0 offen             // 000000002D38: E0501000 8005AC30
	buffer_load_dword v173, v48, s[20:23], 0 offen offset:64   // 000000002D40: E0501040 8005AD30
	buffer_load_dword v174, v49, s[20:23], 0 offen             // 000000002D48: E0501000 8005AE31
	buffer_load_dword v175, v49, s[20:23], 0 offen offset:64   // 000000002D50: E0501040 8005AF31
	buffer_load_dword v176, v50, s[20:23], 0 offen             // 000000002D58: E0501000 8005B032
	buffer_load_dword v177, v50, s[20:23], 0 offen offset:64   // 000000002D60: E0501040 8005B132
	buffer_load_dword v178, v51, s[20:23], 0 offen             // 000000002D68: E0501000 8005B233
	buffer_load_dword v179, v51, s[20:23], 0 offen offset:64   // 000000002D70: E0501040 8005B333
	buffer_load_dword v180, v52, s[20:23], 0 offen             // 000000002D78: E0501000 8005B434
	buffer_load_dword v181, v52, s[20:23], 0 offen offset:64   // 000000002D80: E0501040 8005B534
	buffer_load_dword v182, v53, s[20:23], 0 offen             // 000000002D88: E0501000 8005B635
	buffer_load_dword v183, v53, s[20:23], 0 offen offset:64   // 000000002D90: E0501040 8005B735
	buffer_load_dword v184, v54, s[20:23], 0 offen             // 000000002D98: E0501000 8005B836
	buffer_load_dword v185, v54, s[20:23], 0 offen offset:64   // 000000002DA0: E0501040 8005B936
	buffer_load_dword v186, v55, s[20:23], 0 offen             // 000000002DA8: E0501000 8005BA37
	buffer_load_dword v187, v55, s[20:23], 0 offen offset:64   // 000000002DB0: E0501040 8005BB37
	s_waitcnt vmcnt(37) lgkmcnt(0)                             // 000000002DB8: BF8C8075
	s_barrier                                                  // 000000002DBC: BF8A0000
	v_mul_u32_u24_dpp v40, v24, v10 row_newbcast:0 row_mask:0xf bank_mask:0xf// 000000002DC0: 105014FA FF015018
	v_mul_u32_u24_dpp v41, v24, v10 row_newbcast:1 row_mask:0xf bank_mask:0xf// 000000002DC8: 105214FA FF015118
	v_mul_u32_u24_dpp v42, v24, v10 row_newbcast:2 row_mask:0xf bank_mask:0xf// 000000002DD0: 105414FA FF015218
	v_mul_u32_u24_dpp v43, v24, v10 row_newbcast:3 row_mask:0xf bank_mask:0xf// 000000002DD8: 105614FA FF015318
	v_mul_u32_u24_dpp v44, v24, v10 row_newbcast:4 row_mask:0xf bank_mask:0xf// 000000002DE0: 105814FA FF015418
	v_mul_u32_u24_dpp v45, v24, v10 row_newbcast:5 row_mask:0xf bank_mask:0xf// 000000002DE8: 105A14FA FF015518
	v_mul_u32_u24_dpp v46, v24, v10 row_newbcast:6 row_mask:0xf bank_mask:0xf// 000000002DF0: 105C14FA FF015618
	v_mul_u32_u24_dpp v47, v24, v10 row_newbcast:7 row_mask:0xf bank_mask:0xf// 000000002DF8: 105E14FA FF015718
	v_mul_u32_u24_dpp v48, v24, v10 row_newbcast:8 row_mask:0xf bank_mask:0xf// 000000002E00: 106014FA FF015818
	v_mul_u32_u24_dpp v49, v24, v10 row_newbcast:9 row_mask:0xf bank_mask:0xf// 000000002E08: 106214FA FF015918
	v_mul_u32_u24_dpp v50, v24, v10 row_newbcast:10 row_mask:0xf bank_mask:0xf// 000000002E10: 106414FA FF015A18
	v_mul_u32_u24_dpp v51, v24, v10 row_newbcast:11 row_mask:0xf bank_mask:0xf// 000000002E18: 106614FA FF015B18
	v_mul_u32_u24_dpp v52, v24, v10 row_newbcast:12 row_mask:0xf bank_mask:0xf// 000000002E20: 106814FA FF015C18
	v_mul_u32_u24_dpp v53, v24, v10 row_newbcast:13 row_mask:0xf bank_mask:0xf// 000000002E28: 106A14FA FF015D18
	v_mul_u32_u24_dpp v54, v24, v10 row_newbcast:14 row_mask:0xf bank_mask:0xf// 000000002E30: 106C14FA FF015E18
	v_mul_u32_u24_dpp v55, v24, v10 row_newbcast:15 row_mask:0xf bank_mask:0xf// 000000002E38: 106E14FA FF015F18
	s_mov_b32 s56, m0                                          // 000000002E40: BEB8007C
	s_set_gpr_idx_on s51, gpr_idx(SRC0)                        // 000000002E44: BF110133
	v_add_u32_e32 v36, v40, v3                                 // 000000002E48: 68480728
	v_add_u32_e32 v37, v41, v3                                 // 000000002E4C: 684A0729
	v_add_u32_e32 v38, v42, v3                                 // 000000002E50: 684C072A
	v_add_u32_e32 v39, v43, v3                                 // 000000002E54: 684E072B
	s_set_gpr_idx_off                                          // 000000002E58: BF9C0000
	s_mov_b32 m0, s56                                          // 000000002E5C: BEFC0038
	v_add_u32_e32 v40, v40, v2                                 // 000000002E60: 68500528
	v_add_u32_e32 v41, v41, v2                                 // 000000002E64: 68520529
	v_add_u32_e32 v42, v42, v2                                 // 000000002E68: 6854052A
	v_add_u32_e32 v43, v43, v2                                 // 000000002E6C: 6856052B
	v_add_u32_e32 v44, v44, v2                                 // 000000002E70: 6858052C
	v_add_u32_e32 v45, v45, v2                                 // 000000002E74: 685A052D
	v_add_u32_e32 v46, v46, v2                                 // 000000002E78: 685C052E
	v_add_u32_e32 v47, v47, v2                                 // 000000002E7C: 685E052F
	v_add_u32_e32 v48, v48, v2                                 // 000000002E80: 68600530
	v_add_u32_e32 v49, v49, v2                                 // 000000002E84: 68620531
	v_add_u32_e32 v50, v50, v2                                 // 000000002E88: 68640532
	v_add_u32_e32 v51, v51, v2                                 // 000000002E8C: 68660533
	v_add_u32_e32 v52, v52, v2                                 // 000000002E90: 68680534
	v_add_u32_e32 v53, v53, v2                                 // 000000002E94: 686A0535
	v_add_u32_e32 v54, v54, v2                                 // 000000002E98: 686C0536
	v_add_u32_e32 v55, v55, v2                                 // 000000002E9C: 686E0537
	ds_write_b32 v20, v124                                     // 000000002EA0: D81A0000 00007C14
	ds_write_b32 v20, v125 offset:64                           // 000000002EA8: D81A0040 00007D14
	ds_write_b32 v20, v126 offset:4128                         // 000000002EB0: D81A1020 00007E14
	ds_write_b32 v20, v127 offset:4192                         // 000000002EB8: D81A1060 00007F14
	ds_write_b32 v20, v128 offset:8256                         // 000000002EC0: D81A2040 00008014
	ds_write_b32 v20, v129 offset:8320                         // 000000002EC8: D81A2080 00008114
	ds_write_b32 v20, v130 offset:12384                        // 000000002ED0: D81A3060 00008214
	ds_write_b32 v20, v131 offset:12448                        // 000000002ED8: D81A30A0 00008314
	ds_write_b32 v20, v132 offset:512                          // 000000002EE0: D81A0200 00008414
	ds_write_b32 v20, v133 offset:576                          // 000000002EE8: D81A0240 00008514
	ds_write_b32 v20, v134 offset:4640                         // 000000002EF0: D81A1220 00008614
	ds_write_b32 v20, v135 offset:4704                         // 000000002EF8: D81A1260 00008714
	ds_write_b32 v20, v136 offset:8768                         // 000000002F00: D81A2240 00008814
	ds_write_b32 v20, v137 offset:8832                         // 000000002F08: D81A2280 00008914
	ds_write_b32 v20, v138 offset:12896                        // 000000002F10: D81A3260 00008A14
	ds_write_b32 v20, v139 offset:12960                        // 000000002F18: D81A32A0 00008B14
	ds_write_b32 v21, v72 offset:16512                         // 000000002F20: D81A4080 00004815
	ds_write_b32 v21, v73 offset:16584                         // 000000002F28: D81A40C8 00004915
	ds_write_b32 v21, v74 offset:16656                         // 000000002F30: D81A4110 00004A15
	ds_write_b32 v21, v75 offset:16728                         // 000000002F38: D81A4158 00004B15
	s_waitcnt lgkmcnt(0)                                       // 000000002F40: BF8CC07F
	s_barrier                                                  // 000000002F44: BF8A0000
	s_cmp_lt_i32 s7, 2                                         // 000000002F48: BF048207
	s_cbranch_scc0 label_0324                                  // 000000002F4C: BF840010
	ds_read_b128 a[72:75], v22                                 // 000000002F50: DBFE0000 48000016
	ds_read_b128 a[76:79], v22 offset:64                       // 000000002F58: DBFE0040 4C000016
	ds_read_b128 a[80:83], v22 offset:128                      // 000000002F60: DBFE0080 50000016
	ds_read_b128 a[84:87], v22 offset:192                      // 000000002F68: DBFE00C0 54000016
	ds_read_b128 a[88:91], v22 offset:256                      // 000000002F70: DBFE0100 58000016
	ds_read_b128 a[92:95], v22 offset:320                      // 000000002F78: DBFE0140 5C000016
	ds_read_b128 a[96:99], v22 offset:384                      // 000000002F80: DBFE0180 60000016
	ds_read_b128 a[100:103], v22 offset:448                    // 000000002F88: DBFE01C0 64000016

0000000000002f90 <label_0324>:
	s_waitcnt lgkmcnt(0)                                       // 000000002F90: BF8CC07F
	s_barrier                                                  // 000000002F94: BF8A0000
	ds_write_b32 v20, v140                                     // 000000002F98: D81A0000 00008C14
	ds_write_b32 v20, v141 offset:64                           // 000000002FA0: D81A0040 00008D14
	ds_write_b32 v20, v142 offset:4128                         // 000000002FA8: D81A1020 00008E14
	ds_write_b32 v20, v143 offset:4192                         // 000000002FB0: D81A1060 00008F14
	ds_write_b32 v20, v144 offset:8256                         // 000000002FB8: D81A2040 00009014
	ds_write_b32 v20, v145 offset:8320                         // 000000002FC0: D81A2080 00009114
	ds_write_b32 v20, v146 offset:12384                        // 000000002FC8: D81A3060 00009214
	ds_write_b32 v20, v147 offset:12448                        // 000000002FD0: D81A30A0 00009314
	ds_write_b32 v20, v148 offset:512                          // 000000002FD8: D81A0200 00009414
	ds_write_b32 v20, v149 offset:576                          // 000000002FE0: D81A0240 00009514
	ds_write_b32 v20, v150 offset:4640                         // 000000002FE8: D81A1220 00009614
	ds_write_b32 v20, v151 offset:4704                         // 000000002FF0: D81A1260 00009714
	ds_write_b32 v20, v152 offset:8768                         // 000000002FF8: D81A2240 00009814
	ds_write_b32 v20, v153 offset:8832                         // 000000003000: D81A2280 00009914
	ds_write_b32 v20, v154 offset:12896                        // 000000003008: D81A3260 00009A14
	ds_write_b32 v20, v155 offset:12960                        // 000000003010: D81A32A0 00009B14
	s_waitcnt lgkmcnt(0)                                       // 000000003018: BF8CC07F
	s_barrier                                                  // 00000000301C: BF8A0000
	ds_read_b64 a[104:105], v23 offset:16512                   // 000000003020: DAEC4080 68000017
	ds_read_b64 a[106:107], v23 offset:16520                   // 000000003028: DAEC4088 6A000017
	s_cmp_lt_i32 s7, 2                                         // 000000003030: BF048207
	s_cbranch_scc1 label_035E                                  // 000000003034: BF850010
	ds_read_b128 a[72:75], v22                                 // 000000003038: DBFE0000 48000016
	ds_read_b128 a[76:79], v22 offset:64                       // 000000003040: DBFE0040 4C000016
	ds_read_b128 a[80:83], v22 offset:128                      // 000000003048: DBFE0080 50000016
	ds_read_b128 a[84:87], v22 offset:192                      // 000000003050: DBFE00C0 54000016
	ds_read_b128 a[88:91], v22 offset:256                      // 000000003058: DBFE0100 58000016
	ds_read_b128 a[92:95], v22 offset:320                      // 000000003060: DBFE0140 5C000016
	ds_read_b128 a[96:99], v22 offset:384                      // 000000003068: DBFE0180 60000016
	ds_read_b128 a[100:103], v22 offset:448                    // 000000003070: DBFE01C0 64000016

0000000000003078 <label_035E>:
	s_waitcnt lgkmcnt(0)                                       // 000000003078: BF8CC07F
	s_barrier                                                  // 00000000307C: BF8A0000
	v_perm_b32 v32, v126, v124, s54                            // 000000003080: D1ED0020 00DAF97E
	v_perm_b32 v33, v126, v124, s55                            // 000000003088: D1ED0021 00DEF97E
	v_perm_b32 v34, v130, v128, s54                            // 000000003090: D1ED0022 00DB0182
	v_perm_b32 v35, v130, v128, s55                            // 000000003098: D1ED0023 00DF0182
	v_perm_b32 v56, v34, v32, s53                              // 0000000030A0: D1ED0038 00D64122
	v_perm_b32 v57, v34, v32, s52                              // 0000000030A8: D1ED0039 00D24122
	v_perm_b32 v58, v35, v33, s53                              // 0000000030B0: D1ED003A 00D64323
	v_perm_b32 v59, v35, v33, s52                              // 0000000030B8: D1ED003B 00D24323
	v_accvgpr_write_b32 a108, v56                              // 0000000030C0: D3D9406C 18000138
	v_accvgpr_write_b32 a112, v57                              // 0000000030C8: D3D94070 18000139
	v_accvgpr_write_b32 a116, v58                              // 0000000030D0: D3D94074 1800013A
	v_accvgpr_write_b32 a120, v59                              // 0000000030D8: D3D94078 1800013B
	v_perm_b32 v32, v134, v132, s54                            // 0000000030E0: D1ED0020 00DB0986
	v_perm_b32 v33, v134, v132, s55                            // 0000000030E8: D1ED0021 00DF0986
	v_perm_b32 v34, v138, v136, s54                            // 0000000030F0: D1ED0022 00DB118A
	v_perm_b32 v35, v138, v136, s55                            // 0000000030F8: D1ED0023 00DF118A
	v_perm_b32 v56, v34, v32, s53                              // 000000003100: D1ED0038 00D64122
	v_perm_b32 v57, v34, v32, s52                              // 000000003108: D1ED0039 00D24122
	v_perm_b32 v58, v35, v33, s53                              // 000000003110: D1ED003A 00D64323
	v_perm_b32 v59, v35, v33, s52                              // 000000003118: D1ED003B 00D24323
	v_accvgpr_write_b32 a109, v56                              // 000000003120: D3D9406D 18000138
	v_accvgpr_write_b32 a113, v57                              // 000000003128: D3D94071 18000139
	v_accvgpr_write_b32 a117, v58                              // 000000003130: D3D94075 1800013A
	v_accvgpr_write_b32 a121, v59                              // 000000003138: D3D94079 1800013B
	v_perm_b32 v32, v142, v140, s54                            // 000000003140: D1ED0020 00DB198E
	v_perm_b32 v33, v142, v140, s55                            // 000000003148: D1ED0021 00DF198E
	v_perm_b32 v34, v146, v144, s54                            // 000000003150: D1ED0022 00DB2192
	v_perm_b32 v35, v146, v144, s55                            // 000000003158: D1ED0023 00DF2192
	v_perm_b32 v56, v34, v32, s53                              // 000000003160: D1ED0038 00D64122
	v_perm_b32 v57, v34, v32, s52                              // 000000003168: D1ED0039 00D24122
	v_perm_b32 v58, v35, v33, s53                              // 000000003170: D1ED003A 00D64323
	v_perm_b32 v59, v35, v33, s52                              // 000000003178: D1ED003B 00D24323
	v_accvgpr_write_b32 a110, v56                              // 000000003180: D3D9406E 18000138
	v_accvgpr_write_b32 a114, v57                              // 000000003188: D3D94072 18000139
	v_accvgpr_write_b32 a118, v58                              // 000000003190: D3D94076 1800013A
	v_accvgpr_write_b32 a122, v59                              // 000000003198: D3D9407A 1800013B
	v_perm_b32 v32, v150, v148, s54                            // 0000000031A0: D1ED0020 00DB2996
	v_perm_b32 v33, v150, v148, s55                            // 0000000031A8: D1ED0021 00DF2996
	v_perm_b32 v34, v154, v152, s54                            // 0000000031B0: D1ED0022 00DB319A
	v_perm_b32 v35, v154, v152, s55                            // 0000000031B8: D1ED0023 00DF319A
	v_perm_b32 v56, v34, v32, s53                              // 0000000031C0: D1ED0038 00D64122
	v_perm_b32 v57, v34, v32, s52                              // 0000000031C8: D1ED0039 00D24122
	v_perm_b32 v58, v35, v33, s53                              // 0000000031D0: D1ED003A 00D64323
	v_perm_b32 v59, v35, v33, s52                              // 0000000031D8: D1ED003B 00D24323
	v_accvgpr_write_b32 a111, v56                              // 0000000031E0: D3D9406F 18000138
	v_accvgpr_write_b32 a115, v57                              // 0000000031E8: D3D94073 18000139
	v_accvgpr_write_b32 a119, v58                              // 0000000031F0: D3D94077 1800013A
	v_accvgpr_write_b32 a123, v59                              // 0000000031F8: D3D9407B 1800013B
	v_perm_b32 v32, v127, v125, s54                            // 000000003200: D1ED0020 00DAFB7F
	v_perm_b32 v33, v127, v125, s55                            // 000000003208: D1ED0021 00DEFB7F
	v_perm_b32 v34, v131, v129, s54                            // 000000003210: D1ED0022 00DB0383
	v_perm_b32 v35, v131, v129, s55                            // 000000003218: D1ED0023 00DF0383
	v_perm_b32 v56, v34, v32, s53                              // 000000003220: D1ED0038 00D64122
	v_perm_b32 v57, v34, v32, s52                              // 000000003228: D1ED0039 00D24122
	v_perm_b32 v58, v35, v33, s53                              // 000000003230: D1ED003A 00D64323
	v_perm_b32 v59, v35, v33, s52                              // 000000003238: D1ED003B 00D24323
	v_accvgpr_write_b32 a124, v56                              // 000000003240: D3D9407C 18000138
	v_accvgpr_write_b32 a128, v57                              // 000000003248: D3D94080 18000139
	v_accvgpr_write_b32 a132, v58                              // 000000003250: D3D94084 1800013A
	v_accvgpr_write_b32 a136, v59                              // 000000003258: D3D94088 1800013B
	v_perm_b32 v32, v135, v133, s54                            // 000000003260: D1ED0020 00DB0B87
	v_perm_b32 v33, v135, v133, s55                            // 000000003268: D1ED0021 00DF0B87
	v_perm_b32 v34, v139, v137, s54                            // 000000003270: D1ED0022 00DB138B
	v_perm_b32 v35, v139, v137, s55                            // 000000003278: D1ED0023 00DF138B
	v_perm_b32 v56, v34, v32, s53                              // 000000003280: D1ED0038 00D64122
	v_perm_b32 v57, v34, v32, s52                              // 000000003288: D1ED0039 00D24122
	v_perm_b32 v58, v35, v33, s53                              // 000000003290: D1ED003A 00D64323
	v_perm_b32 v59, v35, v33, s52                              // 000000003298: D1ED003B 00D24323
	v_accvgpr_write_b32 a125, v56                              // 0000000032A0: D3D9407D 18000138
	v_accvgpr_write_b32 a129, v57                              // 0000000032A8: D3D94081 18000139
	v_accvgpr_write_b32 a133, v58                              // 0000000032B0: D3D94085 1800013A
	v_accvgpr_write_b32 a137, v59                              // 0000000032B8: D3D94089 1800013B
	v_perm_b32 v32, v143, v141, s54                            // 0000000032C0: D1ED0020 00DB1B8F
	v_perm_b32 v33, v143, v141, s55                            // 0000000032C8: D1ED0021 00DF1B8F
	v_perm_b32 v34, v147, v145, s54                            // 0000000032D0: D1ED0022 00DB2393
	v_perm_b32 v35, v147, v145, s55                            // 0000000032D8: D1ED0023 00DF2393
	v_perm_b32 v56, v34, v32, s53                              // 0000000032E0: D1ED0038 00D64122
	v_perm_b32 v57, v34, v32, s52                              // 0000000032E8: D1ED0039 00D24122
	v_perm_b32 v58, v35, v33, s53                              // 0000000032F0: D1ED003A 00D64323
	v_perm_b32 v59, v35, v33, s52                              // 0000000032F8: D1ED003B 00D24323
	v_accvgpr_write_b32 a126, v56                              // 000000003300: D3D9407E 18000138
	v_accvgpr_write_b32 a130, v57                              // 000000003308: D3D94082 18000139
	v_accvgpr_write_b32 a134, v58                              // 000000003310: D3D94086 1800013A
	v_accvgpr_write_b32 a138, v59                              // 000000003318: D3D9408A 1800013B
	v_perm_b32 v32, v151, v149, s54                            // 000000003320: D1ED0020 00DB2B97
	v_perm_b32 v33, v151, v149, s55                            // 000000003328: D1ED0021 00DF2B97
	v_perm_b32 v34, v155, v153, s54                            // 000000003330: D1ED0022 00DB339B
	v_perm_b32 v35, v155, v153, s55                            // 000000003338: D1ED0023 00DF339B
	v_perm_b32 v56, v34, v32, s53                              // 000000003340: D1ED0038 00D64122
	v_perm_b32 v57, v34, v32, s52                              // 000000003348: D1ED0039 00D24122
	v_perm_b32 v58, v35, v33, s53                              // 000000003350: D1ED003A 00D64323
	v_perm_b32 v59, v35, v33, s52                              // 000000003358: D1ED003B 00D24323
	v_accvgpr_write_b32 a127, v56                              // 000000003360: D3D9407F 18000138
	v_accvgpr_write_b32 a131, v57                              // 000000003368: D3D94083 18000139
	v_accvgpr_write_b32 a135, v58                              // 000000003370: D3D94087 1800013A
	v_accvgpr_write_b32 a139, v59                              // 000000003378: D3D9408B 1800013B
	s_cmp_lt_u32 s71, 1                                        // 000000003380: BF0A8147
	s_cbranch_scc1 label_0DF3                                  // 000000003384: BF8509D1
	s_cmp_lt_i32 s7, 2                                         // 000000003388: BF048207
	s_cbranch_scc0 label_090C                                  // 00000000338C: BF8404E8

0000000000003390 <label_0424>:
	s_waitcnt vmcnt(16) lgkmcnt(0)                             // 000000003390: BF8C4070
	s_barrier                                                  // 000000003394: BF8A0000
	v_mfma_f32_16x16x32_fp8_fp8 v[88:91], a[72:73], a[0:1], 0  // 000000003398: D3F30058 1A020148
	ds_write_b32 v20, v156                                     // 0000000033A0: D81A0000 00009C14
	ds_write_b32 v20, v157 offset:64                           // 0000000033A8: D81A0040 00009D14
	v_mfma_f32_16x16x32_fp8_fp8 v[88:91], a[74:75], a[2:3], v[88:91]// 0000000033B0: D3F30058 1D62054A
	buffer_load_dword v124, v40, s[20:23], 0 offen             // 0000000033B8: E0501000 80057C28
	buffer_load_dword v125, v40, s[20:23], 0 offen offset:64   // 0000000033C0: E0501040 80057D28
	v_mfma_f32_16x16x32_fp8_fp8 v[88:91], a[76:77], a[4:5], v[88:91]// 0000000033C8: D3F30058 1D62094C
	ds_write_b32 v20, v158 offset:4128                         // 0000000033D0: D81A1020 00009E14
	ds_write_b32 v20, v159 offset:4192                         // 0000000033D8: D81A1060 00009F14
	v_mfma_f32_16x16x32_fp8_fp8 v[88:91], a[78:79], a[6:7], v[88:91]// 0000000033E0: D3F30058 1D620D4E
	buffer_load_dword v24, v26, s[24:27], 0 offen              // 0000000033E8: E0501000 8006181A
	v_mfma_f32_16x16x32_fp8_fp8 v[88:91], a[80:81], a[8:9], v[88:91]// 0000000033F0: D3F30058 1D621150
	ds_write_b32 v20, v160 offset:8256                         // 0000000033F8: D81A2040 0000A014
	ds_write_b32 v20, v161 offset:8320                         // 000000003400: D81A2080 0000A114
	v_mfma_f32_16x16x32_fp8_fp8 v[88:91], a[82:83], a[10:11], v[88:91]// 000000003408: D3F30058 1D621552
	buffer_load_dword v126, v41, s[20:23], 0 offen             // 000000003410: E0501000 80057E29
	buffer_load_dword v127, v41, s[20:23], 0 offen offset:64   // 000000003418: E0501040 80057F29
	v_mfma_f32_16x16x32_fp8_fp8 v[88:91], a[84:85], a[12:13], v[88:91]// 000000003420: D3F30058 1D621954
	ds_write_b32 v20, v162 offset:12384                        // 000000003428: D81A3060 0000A214
	ds_write_b32 v20, v163 offset:12448                        // 000000003430: D81A30A0 0000A314
	v_mfma_f32_16x16x32_fp8_fp8 v[88:91], a[86:87], a[14:15], v[88:91]// 000000003438: D3F30058 1D621D56
	v_mfma_f32_16x16x32_fp8_fp8 v[88:91], a[88:89], a[16:17], v[88:91]// 000000003440: D3F30058 1D622158
	ds_write_b32 v20, v164 offset:512                          // 000000003448: D81A0200 0000A414
	ds_write_b32 v20, v165 offset:576                          // 000000003450: D81A0240 0000A514
	v_mfma_f32_16x16x32_fp8_fp8 v[88:91], a[90:91], a[18:19], v[88:91]// 000000003458: D3F30058 1D62255A
	buffer_load_dword v128, v42, s[20:23], 0 offen             // 000000003460: E0501000 8005802A
	buffer_load_dword v129, v42, s[20:23], 0 offen offset:64   // 000000003468: E0501040 8005812A
	v_mfma_f32_16x16x32_fp8_fp8 v[88:91], a[92:93], a[20:21], v[88:91]// 000000003470: D3F30058 1D62295C
	ds_write_b32 v20, v166 offset:4640                         // 000000003478: D81A1220 0000A614
	ds_write_b32 v20, v167 offset:4704                         // 000000003480: D81A1260 0000A714
	v_mfma_f32_16x16x32_fp8_fp8 v[88:91], a[94:95], a[22:23], v[88:91]// 000000003488: D3F30058 1D622D5E
	v_mfma_f32_16x16x32_fp8_fp8 v[88:91], a[96:97], a[24:25], v[88:91]// 000000003490: D3F30058 1D623160
	ds_write_b32 v20, v168 offset:8768                         // 000000003498: D81A2240 0000A814
	ds_write_b32 v20, v169 offset:8832                         // 0000000034A0: D81A2280 0000A914
	v_mfma_f32_16x16x32_fp8_fp8 v[88:91], a[98:99], a[26:27], v[88:91]// 0000000034A8: D3F30058 1D623562
	buffer_load_dword v130, v43, s[20:23], 0 offen             // 0000000034B0: E0501000 8005822B
	buffer_load_dword v131, v43, s[20:23], 0 offen offset:64   // 0000000034B8: E0501040 8005832B
	v_mfma_f32_16x16x32_fp8_fp8 v[88:91], a[100:101], a[28:29], v[88:91]// 0000000034C0: D3F30058 1D623964
	ds_write_b32 v20, v170 offset:12896                        // 0000000034C8: D81A3260 0000AA14
	ds_write_b32 v20, v171 offset:12960                        // 0000000034D0: D81A32A0 0000AB14
	v_mfma_f32_16x16x32_fp8_fp8 v[88:91], a[102:103], a[30:31], v[88:91]// 0000000034D8: D3F30058 1D623D66
	v_mfma_f32_16x16x32_fp8_fp8 v[88:91], a[104:105], a[32:33], v[88:91]// 0000000034E0: D3F30058 1D624168
	v_mfma_f32_16x16x32_fp8_fp8 v[88:91], a[106:107], a[34:35], v[88:91]// 0000000034E8: D3F30058 1D62456A
	buffer_load_dword v132, v44, s[20:23], 0 offen             // 0000000034F0: E0501000 8005842C
	buffer_load_dword v133, v44, s[20:23], 0 offen offset:64   // 0000000034F8: E0501040 8005852C
	buffer_load_dword v134, v45, s[20:23], 0 offen             // 000000003500: E0501000 8005862D
	buffer_load_dword v135, v45, s[20:23], 0 offen offset:64   // 000000003508: E0501040 8005872D
	buffer_load_dword v136, v46, s[20:23], 0 offen             // 000000003510: E0501000 8005882E
	buffer_load_dword v137, v46, s[20:23], 0 offen offset:64   // 000000003518: E0501040 8005892E
	buffer_load_dword v138, v47, s[20:23], 0 offen             // 000000003520: E0501000 80058A2F
	buffer_load_dword v139, v47, s[20:23], 0 offen offset:64   // 000000003528: E0501040 80058B2F
	ds_write_b32 v21, v80 offset:16512                         // 000000003530: D81A4080 00005015
	ds_write_b32 v21, v81 offset:16584                         // 000000003538: D81A40C8 00005115
	ds_write_b32 v21, v82 offset:16656                         // 000000003540: D81A4110 00005215
	ds_write_b32 v21, v83 offset:16728                         // 000000003548: D81A4158 00005315
	s_waitcnt lgkmcnt(4)                                       // 000000003550: BF8CC47F
	s_barrier                                                  // 000000003554: BF8A0000
	ds_read_b128 a[72:75], v22                                 // 000000003558: DBFE0000 48000016
	ds_read_b128 a[76:79], v22 offset:64                       // 000000003560: DBFE0040 4C000016
	ds_read_b128 a[80:83], v22 offset:128                      // 000000003568: DBFE0080 50000016
	ds_read_b128 a[84:87], v22 offset:192                      // 000000003570: DBFE00C0 54000016
	ds_read_b128 a[88:91], v22 offset:256                      // 000000003578: DBFE0100 58000016
	ds_read_b128 a[92:95], v22 offset:320                      // 000000003580: DBFE0140 5C000016
	ds_read_b128 a[96:99], v22 offset:384                      // 000000003588: DBFE0180 60000016
	ds_read_b128 a[100:103], v22 offset:448                    // 000000003590: DBFE01C0 64000016
	v_add_u32_e32 v26, s73, v26                                // 000000003598: 68343449
	buffer_load_dword v72, v36, s[20:23], 0 offen              // 00000000359C: E0501000 80054824
	buffer_load_dword v73, v37, s[20:23], 0 offen              // 0000000035A4: E0501000 80054925
	v_mov_b32_e32 v8, v88                                      // 0000000035AC: 7E100358
	v_max3_f32 v8, v88, v89, v8                                // 0000000035B0: D1D30008 0422B358
	v_max3_f32 v8, v90, v91, v8                                // 0000000035B8: D1D30008 0422B75A
	ds_write_b32 v5, v8 offset:21120                           // 0000000035C0: D81A5280 00000805
	buffer_load_dword v74, v38, s[20:23], 0 offen              // 0000000035C8: E0501000 80054A26
	buffer_load_dword v75, v39, s[20:23], 0 offen              // 0000000035D0: E0501000 80054B27
	buffer_load_dword v140, v48, s[20:23], 0 offen             // 0000000035D8: E0501000 80058C30
	buffer_load_dword v141, v48, s[20:23], 0 offen offset:64   // 0000000035E0: E0501040 80058D30
	s_waitcnt lgkmcnt(0)                                       // 0000000035E8: BF8CC07F
	s_barrier                                                  // 0000000035EC: BF8A0000
	ds_read_b32 v56, v4 offset:21120                           // 0000000035F0: D86C5280 38000004
	ds_read_b32 v57, v4 offset:21184                           // 0000000035F8: D86C52C0 39000004
	ds_read_b32 v58, v4 offset:21248                           // 000000003600: D86C5300 3A000004
	ds_read_b32 v59, v4 offset:21312                           // 000000003608: D86C5340 3B000004
	ds_read_b32 v60, v4 offset:21376                           // 000000003610: D86C5380 3C000004
	ds_read_b32 v61, v4 offset:21440                           // 000000003618: D86C53C0 3D000004
	ds_read_b32 v62, v4 offset:21504                           // 000000003620: D86C5400 3E000004
	ds_read_b32 v63, v4 offset:21568                           // 000000003628: D86C5440 3F000004
	ds_read_b32 v64, v4 offset:21632                           // 000000003630: D86C5480 40000004
	buffer_load_dword v142, v49, s[20:23], 0 offen             // 000000003638: E0501000 80058E31
	buffer_load_dword v143, v49, s[20:23], 0 offen offset:64   // 000000003640: E0501040 80058F31
	ds_read_b32 v65, v4 offset:21696                           // 000000003648: D86C54C0 41000004
	ds_read_b32 v66, v4 offset:21760                           // 000000003650: D86C5500 42000004
	ds_read_b32 v67, v4 offset:21824                           // 000000003658: D86C5540 43000004
	ds_read_b32 v68, v4 offset:21888                           // 000000003660: D86C5580 44000004
	ds_read_b32 v69, v4 offset:21952                           // 000000003668: D86C55C0 45000004
	ds_read_b32 v70, v4 offset:22016                           // 000000003670: D86C5600 46000004
	ds_read_b32 v71, v4 offset:22080                           // 000000003678: D86C5640 47000004
	buffer_load_dword v144, v50, s[20:23], 0 offen             // 000000003680: E0501000 80059032
	buffer_load_dword v145, v50, s[20:23], 0 offen offset:64   // 000000003688: E0501040 80059132
	s_waitcnt lgkmcnt(0)                                       // 000000003690: BF8CC07F
	v_max3_f32 v8, v56, v57, v8                                // 000000003694: D1D30008 04227338
	v_max3_f32 v8, v58, v59, v8                                // 00000000369C: D1D30008 0422773A
	v_max3_f32 v8, v60, v61, v8                                // 0000000036A4: D1D30008 04227B3C
	v_max3_f32 v8, v62, v63, v8                                // 0000000036AC: D1D30008 04227F3E
	v_max3_f32 v8, v64, v65, v8                                // 0000000036B4: D1D30008 04228340
	v_max3_f32 v8, v66, v67, v8                                // 0000000036BC: D1D30008 04228742
	v_max3_f32 v8, v68, v69, v8                                // 0000000036C4: D1D30008 04228B44
	v_max3_f32 v8, v70, v71, v8                                // 0000000036CC: D1D30008 04228F46
	buffer_load_dword v146, v51, s[20:23], 0 offen             // 0000000036D4: E0501000 80059233
	buffer_load_dword v147, v51, s[20:23], 0 offen offset:64   // 0000000036DC: E0501040 80059333
	v_cmp_eq_u32_e64 s[32:33], v11, v12                        // 0000000036E4: D0CA0020 0002190B
	v_max_f32_e32 v13, v8, v12                                 // 0000000036EC: 161A1908
	v_sub_f32_e32 v18, v12, v13                                // 0000000036F0: 04241B0C
	v_cndmask_b32_e64 v18, v18, 0, s[32:33]                    // 0000000036F4: D1000012 00810112
	v_mov_b32_e32 v12, v13                                     // 0000000036FC: 7E18030D
	v_mul_f32_e32 v9, s5, v13                                  // 000000003700: 0A121A05
	v_mul_f32_e32 v18, s5, v18                                 // 000000003704: 0A242405
	v_exp_f32_e32 v18, v18                                     // 000000003708: 7E244112
	buffer_load_dword v148, v52, s[20:23], 0 offen             // 00000000370C: E0501000 80059434
	buffer_load_dword v149, v52, s[20:23], 0 offen offset:64   // 000000003714: E0501040 80059534
	v_fma_f32 v88, v88, s5, -v9                                // 00000000371C: D1CB0058 84240B58
	v_fma_f32 v89, v89, s5, -v9                                // 000000003724: D1CB0059 84240B59
	v_fma_f32 v90, v90, s5, -v9                                // 00000000372C: D1CB005A 84240B5A
	v_fma_f32 v91, v91, s5, -v9                                // 000000003734: D1CB005B 84240B5B
	v_exp_f32_e32 v88, v88                                     // 00000000373C: 7EB04158
	v_exp_f32_e32 v89, v89                                     // 000000003740: 7EB24159
	v_exp_f32_e32 v90, v90                                     // 000000003744: 7EB4415A
	v_exp_f32_e32 v91, v91                                     // 000000003748: 7EB6415B
	buffer_load_dword v150, v53, s[20:23], 0 offen             // 00000000374C: E0501000 80059635
	buffer_load_dword v151, v53, s[20:23], 0 offen offset:64   // 000000003754: E0501040 80059735
	v_mul_f32_e32 v14, v18, v14                                // 00000000375C: 0A1C1D12
	v_mov_b32_e32 v15, v88                                     // 000000003760: 7E1E0358
	v_add_f32_e32 v15, v89, v15                                // 000000003764: 021E1F59
	v_add_f32_e32 v15, v90, v15                                // 000000003768: 021E1F5A
	v_add_f32_e32 v15, v91, v15                                // 00000000376C: 021E1F5B
	v_add_f32_e32 v14, v15, v14                                // 000000003770: 021C1D0F
	buffer_load_dword v152, v54, s[20:23], 0 offen             // 000000003774: E0501000 80059836
	buffer_load_dword v153, v54, s[20:23], 0 offen offset:64   // 00000000377C: E0501040 80059936
	v_cvt_pk_fp8_f32 v88, v88, v89                             // 000000003784: D2A20058 0002B358
	v_cvt_pk_fp8_f32 v88, v90, v91 op_sel:[0,0,1]              // 00000000378C: D2A24058 0002B75A
	ds_write_b32 v7, v88                                       // 000000003794: D81A0000 00005807
	v_mov_b32_e32 v32, v18                                     // 00000000379C: 7E400312
	v_mov_b32_e32 v33, v18                                     // 0000000037A0: 7E420312
	v_pk_mul_f32 v[92:93], v[32:33], v[92:93]                  // 0000000037A4: D3B1405C 1802B920
	v_pk_mul_f32 v[94:95], v[32:33], v[94:95]                  // 0000000037AC: D3B1405E 1802BD20
	v_pk_mul_f32 v[96:97], v[32:33], v[96:97]                  // 0000000037B4: D3B14060 1802C120
	v_pk_mul_f32 v[98:99], v[32:33], v[98:99]                  // 0000000037BC: D3B14062 1802C520
	v_pk_mul_f32 v[100:101], v[32:33], v[100:101]              // 0000000037C4: D3B14064 1802C920
	v_pk_mul_f32 v[102:103], v[32:33], v[102:103]              // 0000000037CC: D3B14066 1802CD20
	v_pk_mul_f32 v[104:105], v[32:33], v[104:105]              // 0000000037D4: D3B14068 1802D120
	v_pk_mul_f32 v[106:107], v[32:33], v[106:107]              // 0000000037DC: D3B1406A 1802D520
	v_pk_mul_f32 v[108:109], v[32:33], v[108:109]              // 0000000037E4: D3B1406C 1802D920
	v_pk_mul_f32 v[110:111], v[32:33], v[110:111]              // 0000000037EC: D3B1406E 1802DD20
	v_pk_mul_f32 v[112:113], v[32:33], v[112:113]              // 0000000037F4: D3B14070 1802E120
	v_pk_mul_f32 v[114:115], v[32:33], v[114:115]              // 0000000037FC: D3B14072 1802E520
	v_pk_mul_f32 v[116:117], v[32:33], v[116:117]              // 000000003804: D3B14074 1802E920
	v_pk_mul_f32 v[118:119], v[32:33], v[118:119]              // 00000000380C: D3B14076 1802ED20
	v_pk_mul_f32 v[120:121], v[32:33], v[120:121]              // 000000003814: D3B14078 1802F120
	v_pk_mul_f32 v[122:123], v[32:33], v[122:123]              // 00000000381C: D3B1407A 1802F520
	buffer_load_dword v154, v55, s[20:23], 0 offen             // 000000003824: E0501000 80059A37
	buffer_load_dword v155, v55, s[20:23], 0 offen offset:64   // 00000000382C: E0501040 80059B37
	s_waitcnt lgkmcnt(0)                                       // 000000003834: BF8CC07F
	s_barrier                                                  // 000000003838: BF8A0000
	ds_read_b64 v[88:89], v6                                   // 00000000383C: D8EC0000 58000006
	ds_read_b64 v[90:91], v6 offset:32                         // 000000003844: D8EC0020 5A000006
	v_mul_u32_u24_dpp v40, v25, v10 row_newbcast:0 row_mask:0xf bank_mask:0xf// 00000000384C: 105014FA FF015019
	v_mul_u32_u24_dpp v41, v25, v10 row_newbcast:1 row_mask:0xf bank_mask:0xf// 000000003854: 105214FA FF015119
	v_mul_u32_u24_dpp v42, v25, v10 row_newbcast:2 row_mask:0xf bank_mask:0xf// 00000000385C: 105414FA FF015219
	v_mul_u32_u24_dpp v43, v25, v10 row_newbcast:3 row_mask:0xf bank_mask:0xf// 000000003864: 105614FA FF015319
	v_mul_u32_u24_dpp v44, v25, v10 row_newbcast:4 row_mask:0xf bank_mask:0xf// 00000000386C: 105814FA FF015419
	v_mul_u32_u24_dpp v45, v25, v10 row_newbcast:5 row_mask:0xf bank_mask:0xf// 000000003874: 105A14FA FF015519
	v_mul_u32_u24_dpp v46, v25, v10 row_newbcast:6 row_mask:0xf bank_mask:0xf// 00000000387C: 105C14FA FF015619
	v_mul_u32_u24_dpp v47, v25, v10 row_newbcast:7 row_mask:0xf bank_mask:0xf// 000000003884: 105E14FA FF015719
	v_mul_u32_u24_dpp v48, v25, v10 row_newbcast:8 row_mask:0xf bank_mask:0xf// 00000000388C: 106014FA FF015819
	v_mul_u32_u24_dpp v49, v25, v10 row_newbcast:9 row_mask:0xf bank_mask:0xf// 000000003894: 106214FA FF015919
	v_mul_u32_u24_dpp v50, v25, v10 row_newbcast:10 row_mask:0xf bank_mask:0xf// 00000000389C: 106414FA FF015A19
	v_mul_u32_u24_dpp v51, v25, v10 row_newbcast:11 row_mask:0xf bank_mask:0xf// 0000000038A4: 106614FA FF015B19
	v_mul_u32_u24_dpp v52, v25, v10 row_newbcast:12 row_mask:0xf bank_mask:0xf// 0000000038AC: 106814FA FF015C19
	v_mul_u32_u24_dpp v53, v25, v10 row_newbcast:13 row_mask:0xf bank_mask:0xf// 0000000038B4: 106A14FA FF015D19
	v_mul_u32_u24_dpp v54, v25, v10 row_newbcast:14 row_mask:0xf bank_mask:0xf// 0000000038BC: 106C14FA FF015E19
	v_mul_u32_u24_dpp v55, v25, v10 row_newbcast:15 row_mask:0xf bank_mask:0xf// 0000000038C4: 106E14FA FF015F19
	s_mov_b32 s56, m0                                          // 0000000038CC: BEB8007C
	s_set_gpr_idx_on s51, gpr_idx(SRC0)                        // 0000000038D0: BF110133
	v_add_u32_e32 v36, v40, v3                                 // 0000000038D4: 68480728
	v_add_u32_e32 v37, v41, v3                                 // 0000000038D8: 684A0729
	v_add_u32_e32 v38, v42, v3                                 // 0000000038DC: 684C072A
	v_add_u32_e32 v39, v43, v3                                 // 0000000038E0: 684E072B
	s_set_gpr_idx_off                                          // 0000000038E4: BF9C0000
	s_mov_b32 m0, s56                                          // 0000000038E8: BEFC0038
	v_add_u32_e32 v40, v40, v2                                 // 0000000038EC: 68500528
	v_add_u32_e32 v41, v41, v2                                 // 0000000038F0: 68520529
	v_add_u32_e32 v42, v42, v2                                 // 0000000038F4: 6854052A
	v_add_u32_e32 v43, v43, v2                                 // 0000000038F8: 6856052B
	v_add_u32_e32 v44, v44, v2                                 // 0000000038FC: 6858052C
	v_add_u32_e32 v45, v45, v2                                 // 000000003900: 685A052D
	v_add_u32_e32 v46, v46, v2                                 // 000000003904: 685C052E
	v_add_u32_e32 v47, v47, v2                                 // 000000003908: 685E052F
	v_add_u32_e32 v48, v48, v2                                 // 00000000390C: 68600530
	v_add_u32_e32 v49, v49, v2                                 // 000000003910: 68620531
	v_add_u32_e32 v50, v50, v2                                 // 000000003914: 68640532
	;; [unrolled: 1-line block ×3, first 2 shown]
	v_add_u32_e32 v52, v52, v2                                 // 00000000391C: 68680534
	v_add_u32_e32 v53, v53, v2                                 // 000000003920: 686A0535
	v_add_u32_e32 v54, v54, v2                                 // 000000003924: 686C0536
	v_add_u32_e32 v55, v55, v2                                 // 000000003928: 686E0537
	s_waitcnt lgkmcnt(0)                                       // 00000000392C: BF8CC07F
	s_waitcnt vmcnt(37)                                        // 000000003930: BF8C8F75
	v_mfma_f32_16x16x32_fp8_fp8 v[92:95], a[108:109], v[88:89], v[92:95]// 000000003934: D3F3005C 0D72B16C
	v_mfma_f32_16x16x32_fp8_fp8 v[92:95], a[110:111], v[90:91], v[92:95]// 00000000393C: D3F3005C 0D72B56E
	ds_write_b32 v20, v172                                     // 000000003944: D81A0000 0000AC14
	ds_write_b32 v20, v173 offset:64                           // 00000000394C: D81A0040 0000AD14
	v_mfma_f32_16x16x32_fp8_fp8 v[96:99], a[112:113], v[88:89], v[96:99]// 000000003954: D3F30060 0D82B170
	v_mfma_f32_16x16x32_fp8_fp8 v[96:99], a[114:115], v[90:91], v[96:99]// 00000000395C: D3F30060 0D82B572
	ds_write_b32 v20, v174 offset:4128                         // 000000003964: D81A1020 0000AE14
	ds_write_b32 v20, v175 offset:4192                         // 00000000396C: D81A1060 0000AF14
	v_mfma_f32_16x16x32_fp8_fp8 v[100:103], a[116:117], v[88:89], v[100:103]// 000000003974: D3F30064 0D92B174
	v_mfma_f32_16x16x32_fp8_fp8 v[100:103], a[118:119], v[90:91], v[100:103]// 00000000397C: D3F30064 0D92B576
	ds_write_b32 v20, v176 offset:8256                         // 000000003984: D81A2040 0000B014
	ds_write_b32 v20, v177 offset:8320                         // 00000000398C: D81A2080 0000B114
	v_mfma_f32_16x16x32_fp8_fp8 v[104:107], a[120:121], v[88:89], v[104:107]// 000000003994: D3F30068 0DA2B178
	v_mfma_f32_16x16x32_fp8_fp8 v[104:107], a[122:123], v[90:91], v[104:107]// 00000000399C: D3F30068 0DA2B57A
	ds_write_b32 v20, v178 offset:12384                        // 0000000039A4: D81A3060 0000B214
	ds_write_b32 v20, v179 offset:12448                        // 0000000039AC: D81A30A0 0000B314
	v_mfma_f32_16x16x32_fp8_fp8 v[108:111], a[124:125], v[88:89], v[108:111]// 0000000039B4: D3F3006C 0DB2B17C
	v_mfma_f32_16x16x32_fp8_fp8 v[108:111], a[126:127], v[90:91], v[108:111]// 0000000039BC: D3F3006C 0DB2B57E
	ds_write_b32 v20, v180 offset:512                          // 0000000039C4: D81A0200 0000B414
	ds_write_b32 v20, v181 offset:576                          // 0000000039CC: D81A0240 0000B514
	v_mfma_f32_16x16x32_fp8_fp8 v[112:115], a[128:129], v[88:89], v[112:115]// 0000000039D4: D3F30070 0DC2B180
	v_mfma_f32_16x16x32_fp8_fp8 v[112:115], a[130:131], v[90:91], v[112:115]// 0000000039DC: D3F30070 0DC2B582
	ds_write_b32 v20, v182 offset:4640                         // 0000000039E4: D81A1220 0000B614
	ds_write_b32 v20, v183 offset:4704                         // 0000000039EC: D81A1260 0000B714
	v_mfma_f32_16x16x32_fp8_fp8 v[116:119], a[132:133], v[88:89], v[116:119]// 0000000039F4: D3F30074 0DD2B184
	v_mfma_f32_16x16x32_fp8_fp8 v[116:119], a[134:135], v[90:91], v[116:119]// 0000000039FC: D3F30074 0DD2B586
	ds_write_b32 v20, v184 offset:8768                         // 000000003A04: D81A2240 0000B814
	ds_write_b32 v20, v185 offset:8832                         // 000000003A0C: D81A2280 0000B914
	v_mfma_f32_16x16x32_fp8_fp8 v[120:123], a[136:137], v[88:89], v[120:123]// 000000003A14: D3F30078 0DE2B188
	v_mfma_f32_16x16x32_fp8_fp8 v[120:123], a[138:139], v[90:91], v[120:123]// 000000003A1C: D3F30078 0DE2B58A
	ds_write_b32 v20, v186 offset:12896                        // 000000003A24: D81A3260 0000BA14
	ds_write_b32 v20, v187 offset:12960                        // 000000003A2C: D81A32A0 0000BB14
	ds_read_b64 a[104:105], v23 offset:16512                   // 000000003A34: DAEC4080 68000017
	ds_read_b64 a[106:107], v23 offset:16520                   // 000000003A3C: DAEC4088 6A000017
	s_waitcnt lgkmcnt(4)                                       // 000000003A44: BF8CC47F
	s_barrier                                                  // 000000003A48: BF8A0000
	v_perm_b32 v32, v158, v156, s54                            // 000000003A4C: D1ED0020 00DB399E
	v_perm_b32 v33, v158, v156, s55                            // 000000003A54: D1ED0021 00DF399E
	v_perm_b32 v34, v162, v160, s54                            // 000000003A5C: D1ED0022 00DB41A2
	v_perm_b32 v35, v162, v160, s55                            // 000000003A64: D1ED0023 00DF41A2
	v_perm_b32 v56, v34, v32, s53                              // 000000003A6C: D1ED0038 00D64122
	v_perm_b32 v57, v34, v32, s52                              // 000000003A74: D1ED0039 00D24122
	v_perm_b32 v58, v35, v33, s53                              // 000000003A7C: D1ED003A 00D64323
	v_perm_b32 v59, v35, v33, s52                              // 000000003A84: D1ED003B 00D24323
	v_accvgpr_write_b32 a108, v56                              // 000000003A8C: D3D9406C 18000138
	v_accvgpr_write_b32 a112, v57                              // 000000003A94: D3D94070 18000139
	v_accvgpr_write_b32 a116, v58                              // 000000003A9C: D3D94074 1800013A
	v_accvgpr_write_b32 a120, v59                              // 000000003AA4: D3D94078 1800013B
	v_perm_b32 v32, v166, v164, s54                            // 000000003AAC: D1ED0020 00DB49A6
	v_perm_b32 v33, v166, v164, s55                            // 000000003AB4: D1ED0021 00DF49A6
	v_perm_b32 v34, v170, v168, s54                            // 000000003ABC: D1ED0022 00DB51AA
	v_perm_b32 v35, v170, v168, s55                            // 000000003AC4: D1ED0023 00DF51AA
	v_perm_b32 v56, v34, v32, s53                              // 000000003ACC: D1ED0038 00D64122
	v_perm_b32 v57, v34, v32, s52                              // 000000003AD4: D1ED0039 00D24122
	v_perm_b32 v58, v35, v33, s53                              // 000000003ADC: D1ED003A 00D64323
	v_perm_b32 v59, v35, v33, s52                              // 000000003AE4: D1ED003B 00D24323
	v_accvgpr_write_b32 a109, v56                              // 000000003AEC: D3D9406D 18000138
	v_accvgpr_write_b32 a113, v57                              // 000000003AF4: D3D94071 18000139
	v_accvgpr_write_b32 a117, v58                              // 000000003AFC: D3D94075 1800013A
	v_accvgpr_write_b32 a121, v59                              // 000000003B04: D3D94079 1800013B
	v_perm_b32 v32, v174, v172, s54                            // 000000003B0C: D1ED0020 00DB59AE
	v_perm_b32 v33, v174, v172, s55                            // 000000003B14: D1ED0021 00DF59AE
	v_perm_b32 v34, v178, v176, s54                            // 000000003B1C: D1ED0022 00DB61B2
	v_perm_b32 v35, v178, v176, s55                            // 000000003B24: D1ED0023 00DF61B2
	v_perm_b32 v56, v34, v32, s53                              // 000000003B2C: D1ED0038 00D64122
	v_perm_b32 v57, v34, v32, s52                              // 000000003B34: D1ED0039 00D24122
	v_perm_b32 v58, v35, v33, s53                              // 000000003B3C: D1ED003A 00D64323
	v_perm_b32 v59, v35, v33, s52                              // 000000003B44: D1ED003B 00D24323
	v_accvgpr_write_b32 a110, v56                              // 000000003B4C: D3D9406E 18000138
	v_accvgpr_write_b32 a114, v57                              // 000000003B54: D3D94072 18000139
	v_accvgpr_write_b32 a118, v58                              // 000000003B5C: D3D94076 1800013A
	v_accvgpr_write_b32 a122, v59                              // 000000003B64: D3D9407A 1800013B
	v_perm_b32 v32, v182, v180, s54                            // 000000003B6C: D1ED0020 00DB69B6
	v_perm_b32 v33, v182, v180, s55                            // 000000003B74: D1ED0021 00DF69B6
	v_perm_b32 v34, v186, v184, s54                            // 000000003B7C: D1ED0022 00DB71BA
	v_perm_b32 v35, v186, v184, s55                            // 000000003B84: D1ED0023 00DF71BA
	v_perm_b32 v56, v34, v32, s53                              // 000000003B8C: D1ED0038 00D64122
	v_perm_b32 v57, v34, v32, s52                              // 000000003B94: D1ED0039 00D24122
	v_perm_b32 v58, v35, v33, s53                              // 000000003B9C: D1ED003A 00D64323
	v_perm_b32 v59, v35, v33, s52                              // 000000003BA4: D1ED003B 00D24323
	v_accvgpr_write_b32 a111, v56                              // 000000003BAC: D3D9406F 18000138
	v_accvgpr_write_b32 a115, v57                              // 000000003BB4: D3D94073 18000139
	v_accvgpr_write_b32 a119, v58                              // 000000003BBC: D3D94077 1800013A
	v_accvgpr_write_b32 a123, v59                              // 000000003BC4: D3D9407B 1800013B
	v_perm_b32 v32, v159, v157, s54                            // 000000003BCC: D1ED0020 00DB3B9F
	v_perm_b32 v33, v159, v157, s55                            // 000000003BD4: D1ED0021 00DF3B9F
	v_perm_b32 v34, v163, v161, s54                            // 000000003BDC: D1ED0022 00DB43A3
	v_perm_b32 v35, v163, v161, s55                            // 000000003BE4: D1ED0023 00DF43A3
	v_perm_b32 v56, v34, v32, s53                              // 000000003BEC: D1ED0038 00D64122
	v_perm_b32 v57, v34, v32, s52                              // 000000003BF4: D1ED0039 00D24122
	v_perm_b32 v58, v35, v33, s53                              // 000000003BFC: D1ED003A 00D64323
	v_perm_b32 v59, v35, v33, s52                              // 000000003C04: D1ED003B 00D24323
	v_accvgpr_write_b32 a124, v56                              // 000000003C0C: D3D9407C 18000138
	v_accvgpr_write_b32 a128, v57                              // 000000003C14: D3D94080 18000139
	v_accvgpr_write_b32 a132, v58                              // 000000003C1C: D3D94084 1800013A
	v_accvgpr_write_b32 a136, v59                              // 000000003C24: D3D94088 1800013B
	v_perm_b32 v32, v167, v165, s54                            // 000000003C2C: D1ED0020 00DB4BA7
	v_perm_b32 v33, v167, v165, s55                            // 000000003C34: D1ED0021 00DF4BA7
	v_perm_b32 v34, v171, v169, s54                            // 000000003C3C: D1ED0022 00DB53AB
	v_perm_b32 v35, v171, v169, s55                            // 000000003C44: D1ED0023 00DF53AB
	v_perm_b32 v56, v34, v32, s53                              // 000000003C4C: D1ED0038 00D64122
	v_perm_b32 v57, v34, v32, s52                              // 000000003C54: D1ED0039 00D24122
	v_perm_b32 v58, v35, v33, s53                              // 000000003C5C: D1ED003A 00D64323
	v_perm_b32 v59, v35, v33, s52                              // 000000003C64: D1ED003B 00D24323
	v_accvgpr_write_b32 a125, v56                              // 000000003C6C: D3D9407D 18000138
	v_accvgpr_write_b32 a129, v57                              // 000000003C74: D3D94081 18000139
	v_accvgpr_write_b32 a133, v58                              // 000000003C7C: D3D94085 1800013A
	v_accvgpr_write_b32 a137, v59                              // 000000003C84: D3D94089 1800013B
	v_perm_b32 v32, v175, v173, s54                            // 000000003C8C: D1ED0020 00DB5BAF
	v_perm_b32 v33, v175, v173, s55                            // 000000003C94: D1ED0021 00DF5BAF
	v_perm_b32 v34, v179, v177, s54                            // 000000003C9C: D1ED0022 00DB63B3
	v_perm_b32 v35, v179, v177, s55                            // 000000003CA4: D1ED0023 00DF63B3
	v_perm_b32 v56, v34, v32, s53                              // 000000003CAC: D1ED0038 00D64122
	v_perm_b32 v57, v34, v32, s52                              // 000000003CB4: D1ED0039 00D24122
	v_perm_b32 v58, v35, v33, s53                              // 000000003CBC: D1ED003A 00D64323
	v_perm_b32 v59, v35, v33, s52                              // 000000003CC4: D1ED003B 00D24323
	v_accvgpr_write_b32 a126, v56                              // 000000003CCC: D3D9407E 18000138
	v_accvgpr_write_b32 a130, v57                              // 000000003CD4: D3D94082 18000139
	v_accvgpr_write_b32 a134, v58                              // 000000003CDC: D3D94086 1800013A
	v_accvgpr_write_b32 a138, v59                              // 000000003CE4: D3D9408A 1800013B
	v_perm_b32 v32, v183, v181, s54                            // 000000003CEC: D1ED0020 00DB6BB7
	v_perm_b32 v33, v183, v181, s55                            // 000000003CF4: D1ED0021 00DF6BB7
	v_perm_b32 v34, v187, v185, s54                            // 000000003CFC: D1ED0022 00DB73BB
	v_perm_b32 v35, v187, v185, s55                            // 000000003D04: D1ED0023 00DF73BB
	v_perm_b32 v56, v34, v32, s53                              // 000000003D0C: D1ED0038 00D64122
	v_perm_b32 v57, v34, v32, s52                              // 000000003D14: D1ED0039 00D24122
	v_perm_b32 v58, v35, v33, s53                              // 000000003D1C: D1ED003A 00D64323
	v_perm_b32 v59, v35, v33, s52                              // 000000003D24: D1ED003B 00D24323
	v_accvgpr_write_b32 a127, v56                              // 000000003D2C: D3D9407F 18000138
	v_accvgpr_write_b32 a131, v57                              // 000000003D34: D3D94083 18000139
	v_accvgpr_write_b32 a135, v58                              // 000000003D3C: D3D94087 1800013A
	v_accvgpr_write_b32 a139, v59                              // 000000003D44: D3D9408B 1800013B
	s_addk_i32 s70, 0x1                                        // 000000003D4C: B7460001
	s_cmp_lt_i32 s70, s71                                      // 000000003D50: BF044746
	s_cbranch_scc0 label_0909                                  // 000000003D54: BF840273
	s_waitcnt vmcnt(16) lgkmcnt(0)                             // 000000003D58: BF8C4070
	s_barrier                                                  // 000000003D5C: BF8A0000
	v_mfma_f32_16x16x32_fp8_fp8 v[88:91], a[72:73], a[0:1], 0  // 000000003D60: D3F30058 1A020148
	ds_write_b32 v20, v124                                     // 000000003D68: D81A0000 00007C14
	ds_write_b32 v20, v125 offset:64                           // 000000003D70: D81A0040 00007D14
	v_mfma_f32_16x16x32_fp8_fp8 v[88:91], a[74:75], a[2:3], v[88:91]// 000000003D78: D3F30058 1D62054A
	buffer_load_dword v156, v40, s[20:23], 0 offen             // 000000003D80: E0501000 80059C28
	buffer_load_dword v157, v40, s[20:23], 0 offen offset:64   // 000000003D88: E0501040 80059D28
	v_mfma_f32_16x16x32_fp8_fp8 v[88:91], a[76:77], a[4:5], v[88:91]// 000000003D90: D3F30058 1D62094C
	ds_write_b32 v20, v126 offset:4128                         // 000000003D98: D81A1020 00007E14
	ds_write_b32 v20, v127 offset:4192                         // 000000003DA0: D81A1060 00007F14
	v_mfma_f32_16x16x32_fp8_fp8 v[88:91], a[78:79], a[6:7], v[88:91]// 000000003DA8: D3F30058 1D620D4E
	buffer_load_dword v25, v26, s[24:27], 0 offen              // 000000003DB0: E0501000 8006191A
	v_mfma_f32_16x16x32_fp8_fp8 v[88:91], a[80:81], a[8:9], v[88:91]// 000000003DB8: D3F30058 1D621150
	ds_write_b32 v20, v128 offset:8256                         // 000000003DC0: D81A2040 00008014
	ds_write_b32 v20, v129 offset:8320                         // 000000003DC8: D81A2080 00008114
	v_mfma_f32_16x16x32_fp8_fp8 v[88:91], a[82:83], a[10:11], v[88:91]// 000000003DD0: D3F30058 1D621552
	buffer_load_dword v158, v41, s[20:23], 0 offen             // 000000003DD8: E0501000 80059E29
	buffer_load_dword v159, v41, s[20:23], 0 offen offset:64   // 000000003DE0: E0501040 80059F29
	v_mfma_f32_16x16x32_fp8_fp8 v[88:91], a[84:85], a[12:13], v[88:91]// 000000003DE8: D3F30058 1D621954
	ds_write_b32 v20, v130 offset:12384                        // 000000003DF0: D81A3060 00008214
	ds_write_b32 v20, v131 offset:12448                        // 000000003DF8: D81A30A0 00008314
	v_mfma_f32_16x16x32_fp8_fp8 v[88:91], a[86:87], a[14:15], v[88:91]// 000000003E00: D3F30058 1D621D56
	v_mfma_f32_16x16x32_fp8_fp8 v[88:91], a[88:89], a[16:17], v[88:91]// 000000003E08: D3F30058 1D622158
	ds_write_b32 v20, v132 offset:512                          // 000000003E10: D81A0200 00008414
	ds_write_b32 v20, v133 offset:576                          // 000000003E18: D81A0240 00008514
	v_mfma_f32_16x16x32_fp8_fp8 v[88:91], a[90:91], a[18:19], v[88:91]// 000000003E20: D3F30058 1D62255A
	buffer_load_dword v160, v42, s[20:23], 0 offen             // 000000003E28: E0501000 8005A02A
	buffer_load_dword v161, v42, s[20:23], 0 offen offset:64   // 000000003E30: E0501040 8005A12A
	v_mfma_f32_16x16x32_fp8_fp8 v[88:91], a[92:93], a[20:21], v[88:91]// 000000003E38: D3F30058 1D62295C
	ds_write_b32 v20, v134 offset:4640                         // 000000003E40: D81A1220 00008614
	ds_write_b32 v20, v135 offset:4704                         // 000000003E48: D81A1260 00008714
	v_mfma_f32_16x16x32_fp8_fp8 v[88:91], a[94:95], a[22:23], v[88:91]// 000000003E50: D3F30058 1D622D5E
	v_mfma_f32_16x16x32_fp8_fp8 v[88:91], a[96:97], a[24:25], v[88:91]// 000000003E58: D3F30058 1D623160
	ds_write_b32 v20, v136 offset:8768                         // 000000003E60: D81A2240 00008814
	ds_write_b32 v20, v137 offset:8832                         // 000000003E68: D81A2280 00008914
	v_mfma_f32_16x16x32_fp8_fp8 v[88:91], a[98:99], a[26:27], v[88:91]// 000000003E70: D3F30058 1D623562
	buffer_load_dword v162, v43, s[20:23], 0 offen             // 000000003E78: E0501000 8005A22B
	buffer_load_dword v163, v43, s[20:23], 0 offen offset:64   // 000000003E80: E0501040 8005A32B
	v_mfma_f32_16x16x32_fp8_fp8 v[88:91], a[100:101], a[28:29], v[88:91]// 000000003E88: D3F30058 1D623964
	ds_write_b32 v20, v138 offset:12896                        // 000000003E90: D81A3260 00008A14
	ds_write_b32 v20, v139 offset:12960                        // 000000003E98: D81A32A0 00008B14
	v_mfma_f32_16x16x32_fp8_fp8 v[88:91], a[102:103], a[30:31], v[88:91]// 000000003EA0: D3F30058 1D623D66
	v_mfma_f32_16x16x32_fp8_fp8 v[88:91], a[104:105], a[32:33], v[88:91]// 000000003EA8: D3F30058 1D624168
	v_mfma_f32_16x16x32_fp8_fp8 v[88:91], a[106:107], a[34:35], v[88:91]// 000000003EB0: D3F30058 1D62456A
	buffer_load_dword v164, v44, s[20:23], 0 offen             // 000000003EB8: E0501000 8005A42C
	buffer_load_dword v165, v44, s[20:23], 0 offen offset:64   // 000000003EC0: E0501040 8005A52C
	buffer_load_dword v166, v45, s[20:23], 0 offen             // 000000003EC8: E0501000 8005A62D
	buffer_load_dword v167, v45, s[20:23], 0 offen offset:64   // 000000003ED0: E0501040 8005A72D
	buffer_load_dword v168, v46, s[20:23], 0 offen             // 000000003ED8: E0501000 8005A82E
	buffer_load_dword v169, v46, s[20:23], 0 offen offset:64   // 000000003EE0: E0501040 8005A92E
	buffer_load_dword v170, v47, s[20:23], 0 offen             // 000000003EE8: E0501000 8005AA2F
	buffer_load_dword v171, v47, s[20:23], 0 offen offset:64   // 000000003EF0: E0501040 8005AB2F
	ds_write_b32 v21, v72 offset:16512                         // 000000003EF8: D81A4080 00004815
	ds_write_b32 v21, v73 offset:16584                         // 000000003F00: D81A40C8 00004915
	ds_write_b32 v21, v74 offset:16656                         // 000000003F08: D81A4110 00004A15
	ds_write_b32 v21, v75 offset:16728                         // 000000003F10: D81A4158 00004B15
	s_waitcnt lgkmcnt(4)                                       // 000000003F18: BF8CC47F
	s_barrier                                                  // 000000003F1C: BF8A0000
	ds_read_b128 a[72:75], v22                                 // 000000003F20: DBFE0000 48000016
	ds_read_b128 a[76:79], v22 offset:64                       // 000000003F28: DBFE0040 4C000016
	ds_read_b128 a[80:83], v22 offset:128                      // 000000003F30: DBFE0080 50000016
	ds_read_b128 a[84:87], v22 offset:192                      // 000000003F38: DBFE00C0 54000016
	ds_read_b128 a[88:91], v22 offset:256                      // 000000003F40: DBFE0100 58000016
	ds_read_b128 a[92:95], v22 offset:320                      // 000000003F48: DBFE0140 5C000016
	ds_read_b128 a[96:99], v22 offset:384                      // 000000003F50: DBFE0180 60000016
	ds_read_b128 a[100:103], v22 offset:448                    // 000000003F58: DBFE01C0 64000016
	v_add_u32_e32 v26, s73, v26                                // 000000003F60: 68343449
	buffer_load_dword v80, v36, s[20:23], 0 offen              // 000000003F64: E0501000 80055024
	buffer_load_dword v81, v37, s[20:23], 0 offen              // 000000003F6C: E0501000 80055125
	v_mov_b32_e32 v8, v88                                      // 000000003F74: 7E100358
	v_max3_f32 v8, v88, v89, v8                                // 000000003F78: D1D30008 0422B358
	v_max3_f32 v8, v90, v91, v8                                // 000000003F80: D1D30008 0422B75A
	ds_write_b32 v5, v8 offset:21120                           // 000000003F88: D81A5280 00000805
	buffer_load_dword v82, v38, s[20:23], 0 offen              // 000000003F90: E0501000 80055226
	buffer_load_dword v83, v39, s[20:23], 0 offen              // 000000003F98: E0501000 80055327
	buffer_load_dword v172, v48, s[20:23], 0 offen             // 000000003FA0: E0501000 8005AC30
	buffer_load_dword v173, v48, s[20:23], 0 offen offset:64   // 000000003FA8: E0501040 8005AD30
	s_waitcnt lgkmcnt(0)                                       // 000000003FB0: BF8CC07F
	s_barrier                                                  // 000000003FB4: BF8A0000
	ds_read_b32 v56, v4 offset:21120                           // 000000003FB8: D86C5280 38000004
	ds_read_b32 v57, v4 offset:21184                           // 000000003FC0: D86C52C0 39000004
	ds_read_b32 v58, v4 offset:21248                           // 000000003FC8: D86C5300 3A000004
	ds_read_b32 v59, v4 offset:21312                           // 000000003FD0: D86C5340 3B000004
	ds_read_b32 v60, v4 offset:21376                           // 000000003FD8: D86C5380 3C000004
	ds_read_b32 v61, v4 offset:21440                           // 000000003FE0: D86C53C0 3D000004
	ds_read_b32 v62, v4 offset:21504                           // 000000003FE8: D86C5400 3E000004
	ds_read_b32 v63, v4 offset:21568                           // 000000003FF0: D86C5440 3F000004
	ds_read_b32 v64, v4 offset:21632                           // 000000003FF8: D86C5480 40000004
	buffer_load_dword v174, v49, s[20:23], 0 offen             // 000000004000: E0501000 8005AE31
	buffer_load_dword v175, v49, s[20:23], 0 offen offset:64   // 000000004008: E0501040 8005AF31
	ds_read_b32 v65, v4 offset:21696                           // 000000004010: D86C54C0 41000004
	ds_read_b32 v66, v4 offset:21760                           // 000000004018: D86C5500 42000004
	ds_read_b32 v67, v4 offset:21824                           // 000000004020: D86C5540 43000004
	ds_read_b32 v68, v4 offset:21888                           // 000000004028: D86C5580 44000004
	ds_read_b32 v69, v4 offset:21952                           // 000000004030: D86C55C0 45000004
	ds_read_b32 v70, v4 offset:22016                           // 000000004038: D86C5600 46000004
	ds_read_b32 v71, v4 offset:22080                           // 000000004040: D86C5640 47000004
	buffer_load_dword v176, v50, s[20:23], 0 offen             // 000000004048: E0501000 8005B032
	buffer_load_dword v177, v50, s[20:23], 0 offen offset:64   // 000000004050: E0501040 8005B132
	s_waitcnt lgkmcnt(0)                                       // 000000004058: BF8CC07F
	v_max3_f32 v8, v56, v57, v8                                // 00000000405C: D1D30008 04227338
	v_max3_f32 v8, v58, v59, v8                                // 000000004064: D1D30008 0422773A
	v_max3_f32 v8, v60, v61, v8                                // 00000000406C: D1D30008 04227B3C
	v_max3_f32 v8, v62, v63, v8                                // 000000004074: D1D30008 04227F3E
	v_max3_f32 v8, v64, v65, v8                                // 00000000407C: D1D30008 04228340
	v_max3_f32 v8, v66, v67, v8                                // 000000004084: D1D30008 04228742
	v_max3_f32 v8, v68, v69, v8                                // 00000000408C: D1D30008 04228B44
	v_max3_f32 v8, v70, v71, v8                                // 000000004094: D1D30008 04228F46
	buffer_load_dword v178, v51, s[20:23], 0 offen             // 00000000409C: E0501000 8005B233
	buffer_load_dword v179, v51, s[20:23], 0 offen offset:64   // 0000000040A4: E0501040 8005B333
	v_cmp_eq_u32_e64 s[32:33], v11, v12                        // 0000000040AC: D0CA0020 0002190B
	v_max_f32_e32 v13, v8, v12                                 // 0000000040B4: 161A1908
	v_sub_f32_e32 v18, v12, v13                                // 0000000040B8: 04241B0C
	v_cndmask_b32_e64 v18, v18, 0, s[32:33]                    // 0000000040BC: D1000012 00810112
	v_mov_b32_e32 v12, v13                                     // 0000000040C4: 7E18030D
	v_mul_f32_e32 v9, s5, v13                                  // 0000000040C8: 0A121A05
	v_mul_f32_e32 v18, s5, v18                                 // 0000000040CC: 0A242405
	v_exp_f32_e32 v18, v18                                     // 0000000040D0: 7E244112
	buffer_load_dword v180, v52, s[20:23], 0 offen             // 0000000040D4: E0501000 8005B434
	buffer_load_dword v181, v52, s[20:23], 0 offen offset:64   // 0000000040DC: E0501040 8005B534
	v_fma_f32 v88, v88, s5, -v9                                // 0000000040E4: D1CB0058 84240B58
	v_fma_f32 v89, v89, s5, -v9                                // 0000000040EC: D1CB0059 84240B59
	v_fma_f32 v90, v90, s5, -v9                                // 0000000040F4: D1CB005A 84240B5A
	v_fma_f32 v91, v91, s5, -v9                                // 0000000040FC: D1CB005B 84240B5B
	v_exp_f32_e32 v88, v88                                     // 000000004104: 7EB04158
	v_exp_f32_e32 v89, v89                                     // 000000004108: 7EB24159
	v_exp_f32_e32 v90, v90                                     // 00000000410C: 7EB4415A
	v_exp_f32_e32 v91, v91                                     // 000000004110: 7EB6415B
	buffer_load_dword v182, v53, s[20:23], 0 offen             // 000000004114: E0501000 8005B635
	buffer_load_dword v183, v53, s[20:23], 0 offen offset:64   // 00000000411C: E0501040 8005B735
	v_mul_f32_e32 v14, v18, v14                                // 000000004124: 0A1C1D12
	v_mov_b32_e32 v15, v88                                     // 000000004128: 7E1E0358
	v_add_f32_e32 v15, v89, v15                                // 00000000412C: 021E1F59
	v_add_f32_e32 v15, v90, v15                                // 000000004130: 021E1F5A
	v_add_f32_e32 v15, v91, v15                                // 000000004134: 021E1F5B
	v_add_f32_e32 v14, v15, v14                                // 000000004138: 021C1D0F
	buffer_load_dword v184, v54, s[20:23], 0 offen             // 00000000413C: E0501000 8005B836
	buffer_load_dword v185, v54, s[20:23], 0 offen offset:64   // 000000004144: E0501040 8005B936
	v_cvt_pk_fp8_f32 v88, v88, v89                             // 00000000414C: D2A20058 0002B358
	v_cvt_pk_fp8_f32 v88, v90, v91 op_sel:[0,0,1]              // 000000004154: D2A24058 0002B75A
	ds_write_b32 v7, v88                                       // 00000000415C: D81A0000 00005807
	v_mov_b32_e32 v32, v18                                     // 000000004164: 7E400312
	v_mov_b32_e32 v33, v18                                     // 000000004168: 7E420312
	v_pk_mul_f32 v[92:93], v[32:33], v[92:93]                  // 00000000416C: D3B1405C 1802B920
	v_pk_mul_f32 v[94:95], v[32:33], v[94:95]                  // 000000004174: D3B1405E 1802BD20
	v_pk_mul_f32 v[96:97], v[32:33], v[96:97]                  // 00000000417C: D3B14060 1802C120
	v_pk_mul_f32 v[98:99], v[32:33], v[98:99]                  // 000000004184: D3B14062 1802C520
	v_pk_mul_f32 v[100:101], v[32:33], v[100:101]              // 00000000418C: D3B14064 1802C920
	v_pk_mul_f32 v[102:103], v[32:33], v[102:103]              // 000000004194: D3B14066 1802CD20
	v_pk_mul_f32 v[104:105], v[32:33], v[104:105]              // 00000000419C: D3B14068 1802D120
	v_pk_mul_f32 v[106:107], v[32:33], v[106:107]              // 0000000041A4: D3B1406A 1802D520
	v_pk_mul_f32 v[108:109], v[32:33], v[108:109]              // 0000000041AC: D3B1406C 1802D920
	v_pk_mul_f32 v[110:111], v[32:33], v[110:111]              // 0000000041B4: D3B1406E 1802DD20
	v_pk_mul_f32 v[112:113], v[32:33], v[112:113]              // 0000000041BC: D3B14070 1802E120
	v_pk_mul_f32 v[114:115], v[32:33], v[114:115]              // 0000000041C4: D3B14072 1802E520
	v_pk_mul_f32 v[116:117], v[32:33], v[116:117]              // 0000000041CC: D3B14074 1802E920
	v_pk_mul_f32 v[118:119], v[32:33], v[118:119]              // 0000000041D4: D3B14076 1802ED20
	v_pk_mul_f32 v[120:121], v[32:33], v[120:121]              // 0000000041DC: D3B14078 1802F120
	v_pk_mul_f32 v[122:123], v[32:33], v[122:123]              // 0000000041E4: D3B1407A 1802F520
	buffer_load_dword v186, v55, s[20:23], 0 offen             // 0000000041EC: E0501000 8005BA37
	buffer_load_dword v187, v55, s[20:23], 0 offen offset:64   // 0000000041F4: E0501040 8005BB37
	s_waitcnt lgkmcnt(0)                                       // 0000000041FC: BF8CC07F
	s_barrier                                                  // 000000004200: BF8A0000
	ds_read_b64 v[88:89], v6                                   // 000000004204: D8EC0000 58000006
	ds_read_b64 v[90:91], v6 offset:32                         // 00000000420C: D8EC0020 5A000006
	v_mul_u32_u24_dpp v40, v24, v10 row_newbcast:0 row_mask:0xf bank_mask:0xf// 000000004214: 105014FA FF015018
	v_mul_u32_u24_dpp v41, v24, v10 row_newbcast:1 row_mask:0xf bank_mask:0xf// 00000000421C: 105214FA FF015118
	v_mul_u32_u24_dpp v42, v24, v10 row_newbcast:2 row_mask:0xf bank_mask:0xf// 000000004224: 105414FA FF015218
	v_mul_u32_u24_dpp v43, v24, v10 row_newbcast:3 row_mask:0xf bank_mask:0xf// 00000000422C: 105614FA FF015318
	v_mul_u32_u24_dpp v44, v24, v10 row_newbcast:4 row_mask:0xf bank_mask:0xf// 000000004234: 105814FA FF015418
	v_mul_u32_u24_dpp v45, v24, v10 row_newbcast:5 row_mask:0xf bank_mask:0xf// 00000000423C: 105A14FA FF015518
	v_mul_u32_u24_dpp v46, v24, v10 row_newbcast:6 row_mask:0xf bank_mask:0xf// 000000004244: 105C14FA FF015618
	v_mul_u32_u24_dpp v47, v24, v10 row_newbcast:7 row_mask:0xf bank_mask:0xf// 00000000424C: 105E14FA FF015718
	v_mul_u32_u24_dpp v48, v24, v10 row_newbcast:8 row_mask:0xf bank_mask:0xf// 000000004254: 106014FA FF015818
	v_mul_u32_u24_dpp v49, v24, v10 row_newbcast:9 row_mask:0xf bank_mask:0xf// 00000000425C: 106214FA FF015918
	v_mul_u32_u24_dpp v50, v24, v10 row_newbcast:10 row_mask:0xf bank_mask:0xf// 000000004264: 106414FA FF015A18
	v_mul_u32_u24_dpp v51, v24, v10 row_newbcast:11 row_mask:0xf bank_mask:0xf// 00000000426C: 106614FA FF015B18
	v_mul_u32_u24_dpp v52, v24, v10 row_newbcast:12 row_mask:0xf bank_mask:0xf// 000000004274: 106814FA FF015C18
	v_mul_u32_u24_dpp v53, v24, v10 row_newbcast:13 row_mask:0xf bank_mask:0xf// 00000000427C: 106A14FA FF015D18
	v_mul_u32_u24_dpp v54, v24, v10 row_newbcast:14 row_mask:0xf bank_mask:0xf// 000000004284: 106C14FA FF015E18
	v_mul_u32_u24_dpp v55, v24, v10 row_newbcast:15 row_mask:0xf bank_mask:0xf// 00000000428C: 106E14FA FF015F18
	s_mov_b32 s56, m0                                          // 000000004294: BEB8007C
	s_set_gpr_idx_on s51, gpr_idx(SRC0)                        // 000000004298: BF110133
	v_add_u32_e32 v36, v40, v3                                 // 00000000429C: 68480728
	v_add_u32_e32 v37, v41, v3                                 // 0000000042A0: 684A0729
	v_add_u32_e32 v38, v42, v3                                 // 0000000042A4: 684C072A
	v_add_u32_e32 v39, v43, v3                                 // 0000000042A8: 684E072B
	s_set_gpr_idx_off                                          // 0000000042AC: BF9C0000
	s_mov_b32 m0, s56                                          // 0000000042B0: BEFC0038
	v_add_u32_e32 v40, v40, v2                                 // 0000000042B4: 68500528
	v_add_u32_e32 v41, v41, v2                                 // 0000000042B8: 68520529
	v_add_u32_e32 v42, v42, v2                                 // 0000000042BC: 6854052A
	v_add_u32_e32 v43, v43, v2                                 // 0000000042C0: 6856052B
	v_add_u32_e32 v44, v44, v2                                 // 0000000042C4: 6858052C
	v_add_u32_e32 v45, v45, v2                                 // 0000000042C8: 685A052D
	v_add_u32_e32 v46, v46, v2                                 // 0000000042CC: 685C052E
	v_add_u32_e32 v47, v47, v2                                 // 0000000042D0: 685E052F
	v_add_u32_e32 v48, v48, v2                                 // 0000000042D4: 68600530
	v_add_u32_e32 v49, v49, v2                                 // 0000000042D8: 68620531
	v_add_u32_e32 v50, v50, v2                                 // 0000000042DC: 68640532
	v_add_u32_e32 v51, v51, v2                                 // 0000000042E0: 68660533
	v_add_u32_e32 v52, v52, v2                                 // 0000000042E4: 68680534
	v_add_u32_e32 v53, v53, v2                                 // 0000000042E8: 686A0535
	v_add_u32_e32 v54, v54, v2                                 // 0000000042EC: 686C0536
	v_add_u32_e32 v55, v55, v2                                 // 0000000042F0: 686E0537
	s_waitcnt lgkmcnt(0)                                       // 0000000042F4: BF8CC07F
	s_waitcnt vmcnt(37)                                        // 0000000042F8: BF8C8F75
	v_mfma_f32_16x16x32_fp8_fp8 v[92:95], a[108:109], v[88:89], v[92:95]// 0000000042FC: D3F3005C 0D72B16C
	v_mfma_f32_16x16x32_fp8_fp8 v[92:95], a[110:111], v[90:91], v[92:95]// 000000004304: D3F3005C 0D72B56E
	ds_write_b32 v20, v140                                     // 00000000430C: D81A0000 00008C14
	ds_write_b32 v20, v141 offset:64                           // 000000004314: D81A0040 00008D14
	v_mfma_f32_16x16x32_fp8_fp8 v[96:99], a[112:113], v[88:89], v[96:99]// 00000000431C: D3F30060 0D82B170
	v_mfma_f32_16x16x32_fp8_fp8 v[96:99], a[114:115], v[90:91], v[96:99]// 000000004324: D3F30060 0D82B572
	ds_write_b32 v20, v142 offset:4128                         // 00000000432C: D81A1020 00008E14
	ds_write_b32 v20, v143 offset:4192                         // 000000004334: D81A1060 00008F14
	v_mfma_f32_16x16x32_fp8_fp8 v[100:103], a[116:117], v[88:89], v[100:103]// 00000000433C: D3F30064 0D92B174
	v_mfma_f32_16x16x32_fp8_fp8 v[100:103], a[118:119], v[90:91], v[100:103]// 000000004344: D3F30064 0D92B576
	ds_write_b32 v20, v144 offset:8256                         // 00000000434C: D81A2040 00009014
	ds_write_b32 v20, v145 offset:8320                         // 000000004354: D81A2080 00009114
	v_mfma_f32_16x16x32_fp8_fp8 v[104:107], a[120:121], v[88:89], v[104:107]// 00000000435C: D3F30068 0DA2B178
	v_mfma_f32_16x16x32_fp8_fp8 v[104:107], a[122:123], v[90:91], v[104:107]// 000000004364: D3F30068 0DA2B57A
	ds_write_b32 v20, v146 offset:12384                        // 00000000436C: D81A3060 00009214
	ds_write_b32 v20, v147 offset:12448                        // 000000004374: D81A30A0 00009314
	v_mfma_f32_16x16x32_fp8_fp8 v[108:111], a[124:125], v[88:89], v[108:111]// 00000000437C: D3F3006C 0DB2B17C
	v_mfma_f32_16x16x32_fp8_fp8 v[108:111], a[126:127], v[90:91], v[108:111]// 000000004384: D3F3006C 0DB2B57E
	ds_write_b32 v20, v148 offset:512                          // 00000000438C: D81A0200 00009414
	ds_write_b32 v20, v149 offset:576                          // 000000004394: D81A0240 00009514
	v_mfma_f32_16x16x32_fp8_fp8 v[112:115], a[128:129], v[88:89], v[112:115]// 00000000439C: D3F30070 0DC2B180
	v_mfma_f32_16x16x32_fp8_fp8 v[112:115], a[130:131], v[90:91], v[112:115]// 0000000043A4: D3F30070 0DC2B582
	ds_write_b32 v20, v150 offset:4640                         // 0000000043AC: D81A1220 00009614
	ds_write_b32 v20, v151 offset:4704                         // 0000000043B4: D81A1260 00009714
	v_mfma_f32_16x16x32_fp8_fp8 v[116:119], a[132:133], v[88:89], v[116:119]// 0000000043BC: D3F30074 0DD2B184
	v_mfma_f32_16x16x32_fp8_fp8 v[116:119], a[134:135], v[90:91], v[116:119]// 0000000043C4: D3F30074 0DD2B586
	ds_write_b32 v20, v152 offset:8768                         // 0000000043CC: D81A2240 00009814
	ds_write_b32 v20, v153 offset:8832                         // 0000000043D4: D81A2280 00009914
	v_mfma_f32_16x16x32_fp8_fp8 v[120:123], a[136:137], v[88:89], v[120:123]// 0000000043DC: D3F30078 0DE2B188
	v_mfma_f32_16x16x32_fp8_fp8 v[120:123], a[138:139], v[90:91], v[120:123]// 0000000043E4: D3F30078 0DE2B58A
	ds_write_b32 v20, v154 offset:12896                        // 0000000043EC: D81A3260 00009A14
	ds_write_b32 v20, v155 offset:12960                        // 0000000043F4: D81A32A0 00009B14
	ds_read_b64 a[104:105], v23 offset:16512                   // 0000000043FC: DAEC4080 68000017
	ds_read_b64 a[106:107], v23 offset:16520                   // 000000004404: DAEC4088 6A000017
	s_waitcnt lgkmcnt(4)                                       // 00000000440C: BF8CC47F
	s_barrier                                                  // 000000004410: BF8A0000
	v_perm_b32 v32, v126, v124, s54                            // 000000004414: D1ED0020 00DAF97E
	v_perm_b32 v33, v126, v124, s55                            // 00000000441C: D1ED0021 00DEF97E
	v_perm_b32 v34, v130, v128, s54                            // 000000004424: D1ED0022 00DB0182
	v_perm_b32 v35, v130, v128, s55                            // 00000000442C: D1ED0023 00DF0182
	v_perm_b32 v56, v34, v32, s53                              // 000000004434: D1ED0038 00D64122
	v_perm_b32 v57, v34, v32, s52                              // 00000000443C: D1ED0039 00D24122
	v_perm_b32 v58, v35, v33, s53                              // 000000004444: D1ED003A 00D64323
	v_perm_b32 v59, v35, v33, s52                              // 00000000444C: D1ED003B 00D24323
	v_accvgpr_write_b32 a108, v56                              // 000000004454: D3D9406C 18000138
	v_accvgpr_write_b32 a112, v57                              // 00000000445C: D3D94070 18000139
	v_accvgpr_write_b32 a116, v58                              // 000000004464: D3D94074 1800013A
	v_accvgpr_write_b32 a120, v59                              // 00000000446C: D3D94078 1800013B
	v_perm_b32 v32, v134, v132, s54                            // 000000004474: D1ED0020 00DB0986
	v_perm_b32 v33, v134, v132, s55                            // 00000000447C: D1ED0021 00DF0986
	v_perm_b32 v34, v138, v136, s54                            // 000000004484: D1ED0022 00DB118A
	v_perm_b32 v35, v138, v136, s55                            // 00000000448C: D1ED0023 00DF118A
	v_perm_b32 v56, v34, v32, s53                              // 000000004494: D1ED0038 00D64122
	v_perm_b32 v57, v34, v32, s52                              // 00000000449C: D1ED0039 00D24122
	v_perm_b32 v58, v35, v33, s53                              // 0000000044A4: D1ED003A 00D64323
	v_perm_b32 v59, v35, v33, s52                              // 0000000044AC: D1ED003B 00D24323
	v_accvgpr_write_b32 a109, v56                              // 0000000044B4: D3D9406D 18000138
	v_accvgpr_write_b32 a113, v57                              // 0000000044BC: D3D94071 18000139
	v_accvgpr_write_b32 a117, v58                              // 0000000044C4: D3D94075 1800013A
	v_accvgpr_write_b32 a121, v59                              // 0000000044CC: D3D94079 1800013B
	v_perm_b32 v32, v142, v140, s54                            // 0000000044D4: D1ED0020 00DB198E
	v_perm_b32 v33, v142, v140, s55                            // 0000000044DC: D1ED0021 00DF198E
	v_perm_b32 v34, v146, v144, s54                            // 0000000044E4: D1ED0022 00DB2192
	v_perm_b32 v35, v146, v144, s55                            // 0000000044EC: D1ED0023 00DF2192
	v_perm_b32 v56, v34, v32, s53                              // 0000000044F4: D1ED0038 00D64122
	v_perm_b32 v57, v34, v32, s52                              // 0000000044FC: D1ED0039 00D24122
	v_perm_b32 v58, v35, v33, s53                              // 000000004504: D1ED003A 00D64323
	v_perm_b32 v59, v35, v33, s52                              // 00000000450C: D1ED003B 00D24323
	v_accvgpr_write_b32 a110, v56                              // 000000004514: D3D9406E 18000138
	v_accvgpr_write_b32 a114, v57                              // 00000000451C: D3D94072 18000139
	v_accvgpr_write_b32 a118, v58                              // 000000004524: D3D94076 1800013A
	v_accvgpr_write_b32 a122, v59                              // 00000000452C: D3D9407A 1800013B
	v_perm_b32 v32, v150, v148, s54                            // 000000004534: D1ED0020 00DB2996
	v_perm_b32 v33, v150, v148, s55                            // 00000000453C: D1ED0021 00DF2996
	v_perm_b32 v34, v154, v152, s54                            // 000000004544: D1ED0022 00DB319A
	v_perm_b32 v35, v154, v152, s55                            // 00000000454C: D1ED0023 00DF319A
	v_perm_b32 v56, v34, v32, s53                              // 000000004554: D1ED0038 00D64122
	v_perm_b32 v57, v34, v32, s52                              // 00000000455C: D1ED0039 00D24122
	v_perm_b32 v58, v35, v33, s53                              // 000000004564: D1ED003A 00D64323
	v_perm_b32 v59, v35, v33, s52                              // 00000000456C: D1ED003B 00D24323
	v_accvgpr_write_b32 a111, v56                              // 000000004574: D3D9406F 18000138
	v_accvgpr_write_b32 a115, v57                              // 00000000457C: D3D94073 18000139
	v_accvgpr_write_b32 a119, v58                              // 000000004584: D3D94077 1800013A
	v_accvgpr_write_b32 a123, v59                              // 00000000458C: D3D9407B 1800013B
	v_perm_b32 v32, v127, v125, s54                            // 000000004594: D1ED0020 00DAFB7F
	v_perm_b32 v33, v127, v125, s55                            // 00000000459C: D1ED0021 00DEFB7F
	v_perm_b32 v34, v131, v129, s54                            // 0000000045A4: D1ED0022 00DB0383
	v_perm_b32 v35, v131, v129, s55                            // 0000000045AC: D1ED0023 00DF0383
	v_perm_b32 v56, v34, v32, s53                              // 0000000045B4: D1ED0038 00D64122
	v_perm_b32 v57, v34, v32, s52                              // 0000000045BC: D1ED0039 00D24122
	v_perm_b32 v58, v35, v33, s53                              // 0000000045C4: D1ED003A 00D64323
	v_perm_b32 v59, v35, v33, s52                              // 0000000045CC: D1ED003B 00D24323
	v_accvgpr_write_b32 a124, v56                              // 0000000045D4: D3D9407C 18000138
	v_accvgpr_write_b32 a128, v57                              // 0000000045DC: D3D94080 18000139
	v_accvgpr_write_b32 a132, v58                              // 0000000045E4: D3D94084 1800013A
	v_accvgpr_write_b32 a136, v59                              // 0000000045EC: D3D94088 1800013B
	v_perm_b32 v32, v135, v133, s54                            // 0000000045F4: D1ED0020 00DB0B87
	v_perm_b32 v33, v135, v133, s55                            // 0000000045FC: D1ED0021 00DF0B87
	v_perm_b32 v34, v139, v137, s54                            // 000000004604: D1ED0022 00DB138B
	v_perm_b32 v35, v139, v137, s55                            // 00000000460C: D1ED0023 00DF138B
	v_perm_b32 v56, v34, v32, s53                              // 000000004614: D1ED0038 00D64122
	v_perm_b32 v57, v34, v32, s52                              // 00000000461C: D1ED0039 00D24122
	v_perm_b32 v58, v35, v33, s53                              // 000000004624: D1ED003A 00D64323
	v_perm_b32 v59, v35, v33, s52                              // 00000000462C: D1ED003B 00D24323
	v_accvgpr_write_b32 a125, v56                              // 000000004634: D3D9407D 18000138
	v_accvgpr_write_b32 a129, v57                              // 00000000463C: D3D94081 18000139
	v_accvgpr_write_b32 a133, v58                              // 000000004644: D3D94085 1800013A
	v_accvgpr_write_b32 a137, v59                              // 00000000464C: D3D94089 1800013B
	v_perm_b32 v32, v143, v141, s54                            // 000000004654: D1ED0020 00DB1B8F
	v_perm_b32 v33, v143, v141, s55                            // 00000000465C: D1ED0021 00DF1B8F
	v_perm_b32 v34, v147, v145, s54                            // 000000004664: D1ED0022 00DB2393
	v_perm_b32 v35, v147, v145, s55                            // 00000000466C: D1ED0023 00DF2393
	v_perm_b32 v56, v34, v32, s53                              // 000000004674: D1ED0038 00D64122
	v_perm_b32 v57, v34, v32, s52                              // 00000000467C: D1ED0039 00D24122
	v_perm_b32 v58, v35, v33, s53                              // 000000004684: D1ED003A 00D64323
	v_perm_b32 v59, v35, v33, s52                              // 00000000468C: D1ED003B 00D24323
	v_accvgpr_write_b32 a126, v56                              // 000000004694: D3D9407E 18000138
	v_accvgpr_write_b32 a130, v57                              // 00000000469C: D3D94082 18000139
	v_accvgpr_write_b32 a134, v58                              // 0000000046A4: D3D94086 1800013A
	v_accvgpr_write_b32 a138, v59                              // 0000000046AC: D3D9408A 1800013B
	v_perm_b32 v32, v151, v149, s54                            // 0000000046B4: D1ED0020 00DB2B97
	v_perm_b32 v33, v151, v149, s55                            // 0000000046BC: D1ED0021 00DF2B97
	v_perm_b32 v34, v155, v153, s54                            // 0000000046C4: D1ED0022 00DB339B
	v_perm_b32 v35, v155, v153, s55                            // 0000000046CC: D1ED0023 00DF339B
	v_perm_b32 v56, v34, v32, s53                              // 0000000046D4: D1ED0038 00D64122
	v_perm_b32 v57, v34, v32, s52                              // 0000000046DC: D1ED0039 00D24122
	v_perm_b32 v58, v35, v33, s53                              // 0000000046E4: D1ED003A 00D64323
	v_perm_b32 v59, v35, v33, s52                              // 0000000046EC: D1ED003B 00D24323
	v_accvgpr_write_b32 a127, v56                              // 0000000046F4: D3D9407F 18000138
	v_accvgpr_write_b32 a131, v57                              // 0000000046FC: D3D94083 18000139
	v_accvgpr_write_b32 a135, v58                              // 000000004704: D3D94087 1800013A
	v_accvgpr_write_b32 a139, v59                              // 00000000470C: D3D9408B 1800013B
	s_addk_i32 s70, 0x1                                        // 000000004714: B7460001
	s_cmp_lt_i32 s70, s71                                      // 000000004718: BF044746
	s_cbranch_scc0 label_0909                                  // 00000000471C: BF840001
	s_branch label_0424                                        // 000000004720: BF82FB1B

0000000000004724 <label_0909>:
	s_nop 0                                                    // 000000004724: BF800000
	s_nop 0                                                    // 000000004728: BF800000
	s_branch label_0DF1                                        // 00000000472C: BF8204E5

0000000000004730 <label_090C>:
	s_waitcnt vmcnt(16) lgkmcnt(0)                             // 000000004730: BF8C4070
	s_barrier                                                  // 000000004734: BF8A0000
	v_mfma_f32_16x16x32_fp8_fp8 v[88:91], a[72:73], a[0:1], 0  // 000000004738: D3F30058 1A020148
	buffer_load_dword v124, v40, s[20:23], 0 offen             // 000000004740: E0501000 80057C28
	buffer_load_dword v125, v40, s[20:23], 0 offen offset:64   // 000000004748: E0501040 80057D28
	v_mfma_f32_16x16x32_fp8_fp8 v[88:91], a[74:75], a[2:3], v[88:91]// 000000004750: D3F30058 1D62054A
	ds_write_b32 v20, v156                                     // 000000004758: D81A0000 00009C14
	ds_write_b32 v20, v157 offset:64                           // 000000004760: D81A0040 00009D14
	v_mfma_f32_16x16x32_fp8_fp8 v[88:91], a[76:77], a[4:5], v[88:91]// 000000004768: D3F30058 1D62094C
	buffer_load_dword v24, v26, s[24:27], 0 offen              // 000000004770: E0501000 8006181A
	v_mfma_f32_16x16x32_fp8_fp8 v[88:91], a[78:79], a[6:7], v[88:91]// 000000004778: D3F30058 1D620D4E
	ds_write_b32 v20, v158 offset:4128                         // 000000004780: D81A1020 00009E14
	ds_write_b32 v20, v159 offset:4192                         // 000000004788: D81A1060 00009F14
	v_mfma_f32_16x16x32_fp8_fp8 v[88:91], a[80:81], a[8:9], v[88:91]// 000000004790: D3F30058 1D621150
	buffer_load_dword v126, v41, s[20:23], 0 offen             // 000000004798: E0501000 80057E29
	buffer_load_dword v127, v41, s[20:23], 0 offen offset:64   // 0000000047A0: E0501040 80057F29
	v_mfma_f32_16x16x32_fp8_fp8 v[88:91], a[82:83], a[10:11], v[88:91]// 0000000047A8: D3F30058 1D621552
	ds_write_b32 v20, v160 offset:8256                         // 0000000047B0: D81A2040 0000A014
	ds_write_b32 v20, v161 offset:8320                         // 0000000047B8: D81A2080 0000A114
	v_mfma_f32_16x16x32_fp8_fp8 v[88:91], a[84:85], a[12:13], v[88:91]// 0000000047C0: D3F30058 1D621954
	v_mfma_f32_16x16x32_fp8_fp8 v[88:91], a[86:87], a[14:15], v[88:91]// 0000000047C8: D3F30058 1D621D56
	ds_write_b32 v20, v162 offset:12384                        // 0000000047D0: D81A3060 0000A214
	ds_write_b32 v20, v163 offset:12448                        // 0000000047D8: D81A30A0 0000A314
	v_mfma_f32_16x16x32_fp8_fp8 v[88:91], a[88:89], a[16:17], v[88:91]// 0000000047E0: D3F30058 1D622158
	buffer_load_dword v128, v42, s[20:23], 0 offen             // 0000000047E8: E0501000 8005802A
	buffer_load_dword v129, v42, s[20:23], 0 offen offset:64   // 0000000047F0: E0501040 8005812A
	v_mfma_f32_16x16x32_fp8_fp8 v[88:91], a[90:91], a[18:19], v[88:91]// 0000000047F8: D3F30058 1D62255A
	ds_write_b32 v20, v164 offset:512                          // 000000004800: D81A0200 0000A414
	ds_write_b32 v20, v165 offset:576                          // 000000004808: D81A0240 0000A514
	v_mfma_f32_16x16x32_fp8_fp8 v[88:91], a[92:93], a[20:21], v[88:91]// 000000004810: D3F30058 1D62295C
	v_mfma_f32_16x16x32_fp8_fp8 v[88:91], a[94:95], a[22:23], v[88:91]// 000000004818: D3F30058 1D622D5E
	ds_write_b32 v20, v166 offset:4640                         // 000000004820: D81A1220 0000A614
	ds_write_b32 v20, v167 offset:4704                         // 000000004828: D81A1260 0000A714
	v_mfma_f32_16x16x32_fp8_fp8 v[88:91], a[96:97], a[24:25], v[88:91]// 000000004830: D3F30058 1D623160
	buffer_load_dword v130, v43, s[20:23], 0 offen             // 000000004838: E0501000 8005822B
	buffer_load_dword v131, v43, s[20:23], 0 offen offset:64   // 000000004840: E0501040 8005832B
	v_mfma_f32_16x16x32_fp8_fp8 v[88:91], a[98:99], a[26:27], v[88:91]// 000000004848: D3F30058 1D623562
	ds_write_b32 v20, v168 offset:8768                         // 000000004850: D81A2240 0000A814
	ds_write_b32 v20, v169 offset:8832                         // 000000004858: D81A2280 0000A914
	v_mfma_f32_16x16x32_fp8_fp8 v[88:91], a[100:101], a[28:29], v[88:91]// 000000004860: D3F30058 1D623964
	v_mfma_f32_16x16x32_fp8_fp8 v[88:91], a[102:103], a[30:31], v[88:91]// 000000004868: D3F30058 1D623D66
	ds_write_b32 v20, v170 offset:12896                        // 000000004870: D81A3260 0000AA14
	ds_write_b32 v20, v171 offset:12960                        // 000000004878: D81A32A0 0000AB14
	v_mfma_f32_16x16x32_fp8_fp8 v[88:91], a[104:105], a[32:33], v[88:91]// 000000004880: D3F30058 1D624168
	buffer_load_dword v132, v44, s[20:23], 0 offen             // 000000004888: E0501000 8005842C
	buffer_load_dword v133, v44, s[20:23], 0 offen offset:64   // 000000004890: E0501040 8005852C
	v_mfma_f32_16x16x32_fp8_fp8 v[88:91], a[106:107], a[34:35], v[88:91]// 000000004898: D3F30058 1D62456A
	buffer_load_dword v134, v45, s[20:23], 0 offen             // 0000000048A0: E0501000 8005862D
	buffer_load_dword v135, v45, s[20:23], 0 offen offset:64   // 0000000048A8: E0501040 8005872D
	buffer_load_dword v136, v46, s[20:23], 0 offen             // 0000000048B0: E0501000 8005882E
	buffer_load_dword v137, v46, s[20:23], 0 offen offset:64   // 0000000048B8: E0501040 8005892E
	buffer_load_dword v138, v47, s[20:23], 0 offen             // 0000000048C0: E0501000 80058A2F
	buffer_load_dword v139, v47, s[20:23], 0 offen offset:64   // 0000000048C8: E0501040 80058B2F
	ds_write_b32 v21, v80 offset:16512                         // 0000000048D0: D81A4080 00005015
	ds_write_b32 v21, v81 offset:16584                         // 0000000048D8: D81A40C8 00005115
	ds_write_b32 v21, v82 offset:16656                         // 0000000048E0: D81A4110 00005215
	ds_write_b32 v21, v83 offset:16728                         // 0000000048E8: D81A4158 00005315
	s_waitcnt lgkmcnt(4)                                       // 0000000048F0: BF8CC47F
	s_barrier                                                  // 0000000048F4: BF8A0000
	v_add_u32_e32 v26, s73, v26                                // 0000000048F8: 68343449
	buffer_load_dword v72, v36, s[20:23], 0 offen              // 0000000048FC: E0501000 80054824
	buffer_load_dword v73, v37, s[20:23], 0 offen              // 000000004904: E0501000 80054925
	v_mov_b32_e32 v8, v88                                      // 00000000490C: 7E100358
	v_max3_f32 v8, v88, v89, v8                                // 000000004910: D1D30008 0422B358
	v_max3_f32 v8, v90, v91, v8                                // 000000004918: D1D30008 0422B75A
	ds_write_b32 v5, v8 offset:21120                           // 000000004920: D81A5280 00000805
	buffer_load_dword v74, v38, s[20:23], 0 offen              // 000000004928: E0501000 80054A26
	buffer_load_dword v75, v39, s[20:23], 0 offen              // 000000004930: E0501000 80054B27
	buffer_load_dword v140, v48, s[20:23], 0 offen             // 000000004938: E0501000 80058C30
	buffer_load_dword v141, v48, s[20:23], 0 offen offset:64   // 000000004940: E0501040 80058D30
	s_waitcnt lgkmcnt(0)                                       // 000000004948: BF8CC07F
	s_barrier                                                  // 00000000494C: BF8A0000
	ds_read_b32 v56, v4 offset:21120                           // 000000004950: D86C5280 38000004
	ds_read_b32 v57, v4 offset:21184                           // 000000004958: D86C52C0 39000004
	ds_read_b32 v58, v4 offset:21248                           // 000000004960: D86C5300 3A000004
	ds_read_b32 v59, v4 offset:21312                           // 000000004968: D86C5340 3B000004
	ds_read_b32 v60, v4 offset:21376                           // 000000004970: D86C5380 3C000004
	ds_read_b32 v61, v4 offset:21440                           // 000000004978: D86C53C0 3D000004
	ds_read_b32 v62, v4 offset:21504                           // 000000004980: D86C5400 3E000004
	ds_read_b32 v63, v4 offset:21568                           // 000000004988: D86C5440 3F000004
	ds_read_b32 v64, v4 offset:21632                           // 000000004990: D86C5480 40000004
	buffer_load_dword v142, v49, s[20:23], 0 offen             // 000000004998: E0501000 80058E31
	buffer_load_dword v143, v49, s[20:23], 0 offen offset:64   // 0000000049A0: E0501040 80058F31
	ds_read_b32 v65, v4 offset:21696                           // 0000000049A8: D86C54C0 41000004
	ds_read_b32 v66, v4 offset:21760                           // 0000000049B0: D86C5500 42000004
	ds_read_b32 v67, v4 offset:21824                           // 0000000049B8: D86C5540 43000004
	ds_read_b32 v68, v4 offset:21888                           // 0000000049C0: D86C5580 44000004
	ds_read_b32 v69, v4 offset:21952                           // 0000000049C8: D86C55C0 45000004
	ds_read_b32 v70, v4 offset:22016                           // 0000000049D0: D86C5600 46000004
	ds_read_b32 v71, v4 offset:22080                           // 0000000049D8: D86C5640 47000004
	buffer_load_dword v144, v50, s[20:23], 0 offen             // 0000000049E0: E0501000 80059032
	buffer_load_dword v145, v50, s[20:23], 0 offen offset:64   // 0000000049E8: E0501040 80059132
	s_waitcnt lgkmcnt(0)                                       // 0000000049F0: BF8CC07F
	v_max3_f32 v8, v56, v57, v8                                // 0000000049F4: D1D30008 04227338
	v_max3_f32 v8, v58, v59, v8                                // 0000000049FC: D1D30008 0422773A
	v_max3_f32 v8, v60, v61, v8                                // 000000004A04: D1D30008 04227B3C
	v_max3_f32 v8, v62, v63, v8                                // 000000004A0C: D1D30008 04227F3E
	v_max3_f32 v8, v64, v65, v8                                // 000000004A14: D1D30008 04228340
	v_max3_f32 v8, v66, v67, v8                                // 000000004A1C: D1D30008 04228742
	v_max3_f32 v8, v68, v69, v8                                // 000000004A24: D1D30008 04228B44
	v_max3_f32 v8, v70, v71, v8                                // 000000004A2C: D1D30008 04228F46
	buffer_load_dword v146, v51, s[20:23], 0 offen             // 000000004A34: E0501000 80059233
	buffer_load_dword v147, v51, s[20:23], 0 offen offset:64   // 000000004A3C: E0501040 80059333
	v_cmp_eq_u32_e64 s[32:33], v11, v12                        // 000000004A44: D0CA0020 0002190B
	v_max_f32_e32 v13, v8, v12                                 // 000000004A4C: 161A1908
	v_sub_f32_e32 v18, v12, v13                                // 000000004A50: 04241B0C
	v_cndmask_b32_e64 v18, v18, 0, s[32:33]                    // 000000004A54: D1000012 00810112
	v_mov_b32_e32 v12, v13                                     // 000000004A5C: 7E18030D
	v_mul_f32_e32 v9, s5, v13                                  // 000000004A60: 0A121A05
	v_mul_f32_e32 v18, s5, v18                                 // 000000004A64: 0A242405
	v_exp_f32_e32 v18, v18                                     // 000000004A68: 7E244112
	buffer_load_dword v148, v52, s[20:23], 0 offen             // 000000004A6C: E0501000 80059434
	buffer_load_dword v149, v52, s[20:23], 0 offen offset:64   // 000000004A74: E0501040 80059534
	v_fma_f32 v88, v88, s5, -v9                                // 000000004A7C: D1CB0058 84240B58
	v_fma_f32 v89, v89, s5, -v9                                // 000000004A84: D1CB0059 84240B59
	v_fma_f32 v90, v90, s5, -v9                                // 000000004A8C: D1CB005A 84240B5A
	v_fma_f32 v91, v91, s5, -v9                                // 000000004A94: D1CB005B 84240B5B
	v_exp_f32_e32 v88, v88                                     // 000000004A9C: 7EB04158
	v_exp_f32_e32 v89, v89                                     // 000000004AA0: 7EB24159
	v_exp_f32_e32 v90, v90                                     // 000000004AA4: 7EB4415A
	v_exp_f32_e32 v91, v91                                     // 000000004AA8: 7EB6415B
	buffer_load_dword v150, v53, s[20:23], 0 offen             // 000000004AAC: E0501000 80059635
	buffer_load_dword v151, v53, s[20:23], 0 offen offset:64   // 000000004AB4: E0501040 80059735
	v_mul_f32_e32 v14, v18, v14                                // 000000004ABC: 0A1C1D12
	v_mov_b32_e32 v15, v88                                     // 000000004AC0: 7E1E0358
	v_add_f32_e32 v15, v89, v15                                // 000000004AC4: 021E1F59
	v_add_f32_e32 v15, v90, v15                                // 000000004AC8: 021E1F5A
	v_add_f32_e32 v15, v91, v15                                // 000000004ACC: 021E1F5B
	v_add_f32_e32 v14, v15, v14                                // 000000004AD0: 021C1D0F
	buffer_load_dword v152, v54, s[20:23], 0 offen             // 000000004AD4: E0501000 80059836
	buffer_load_dword v153, v54, s[20:23], 0 offen offset:64   // 000000004ADC: E0501040 80059936
	v_cvt_pk_fp8_f32 v88, v88, v89                             // 000000004AE4: D2A20058 0002B358
	v_cvt_pk_fp8_f32 v88, v90, v91 op_sel:[0,0,1]              // 000000004AEC: D2A24058 0002B75A
	ds_write_b32 v7, v88                                       // 000000004AF4: D81A0000 00005807
	v_mov_b32_e32 v32, v18                                     // 000000004AFC: 7E400312
	v_mov_b32_e32 v33, v18                                     // 000000004B00: 7E420312
	v_pk_mul_f32 v[92:93], v[32:33], v[92:93]                  // 000000004B04: D3B1405C 1802B920
	v_pk_mul_f32 v[94:95], v[32:33], v[94:95]                  // 000000004B0C: D3B1405E 1802BD20
	v_pk_mul_f32 v[96:97], v[32:33], v[96:97]                  // 000000004B14: D3B14060 1802C120
	v_pk_mul_f32 v[98:99], v[32:33], v[98:99]                  // 000000004B1C: D3B14062 1802C520
	v_pk_mul_f32 v[100:101], v[32:33], v[100:101]              // 000000004B24: D3B14064 1802C920
	v_pk_mul_f32 v[102:103], v[32:33], v[102:103]              // 000000004B2C: D3B14066 1802CD20
	v_pk_mul_f32 v[104:105], v[32:33], v[104:105]              // 000000004B34: D3B14068 1802D120
	v_pk_mul_f32 v[106:107], v[32:33], v[106:107]              // 000000004B3C: D3B1406A 1802D520
	v_pk_mul_f32 v[108:109], v[32:33], v[108:109]              // 000000004B44: D3B1406C 1802D920
	v_pk_mul_f32 v[110:111], v[32:33], v[110:111]              // 000000004B4C: D3B1406E 1802DD20
	v_pk_mul_f32 v[112:113], v[32:33], v[112:113]              // 000000004B54: D3B14070 1802E120
	v_pk_mul_f32 v[114:115], v[32:33], v[114:115]              // 000000004B5C: D3B14072 1802E520
	v_pk_mul_f32 v[116:117], v[32:33], v[116:117]              // 000000004B64: D3B14074 1802E920
	v_pk_mul_f32 v[118:119], v[32:33], v[118:119]              // 000000004B6C: D3B14076 1802ED20
	v_pk_mul_f32 v[120:121], v[32:33], v[120:121]              // 000000004B74: D3B14078 1802F120
	v_pk_mul_f32 v[122:123], v[32:33], v[122:123]              // 000000004B7C: D3B1407A 1802F520
	buffer_load_dword v154, v55, s[20:23], 0 offen             // 000000004B84: E0501000 80059A37
	buffer_load_dword v155, v55, s[20:23], 0 offen offset:64   // 000000004B8C: E0501040 80059B37
	s_waitcnt lgkmcnt(0)                                       // 000000004B94: BF8CC07F
	s_barrier                                                  // 000000004B98: BF8A0000
	ds_read_b64 v[88:89], v6                                   // 000000004B9C: D8EC0000 58000006
	ds_read_b64 v[90:91], v6 offset:32                         // 000000004BA4: D8EC0020 5A000006
	v_mul_u32_u24_dpp v40, v25, v10 row_newbcast:0 row_mask:0xf bank_mask:0xf// 000000004BAC: 105014FA FF015019
	v_mul_u32_u24_dpp v41, v25, v10 row_newbcast:1 row_mask:0xf bank_mask:0xf// 000000004BB4: 105214FA FF015119
	v_mul_u32_u24_dpp v42, v25, v10 row_newbcast:2 row_mask:0xf bank_mask:0xf// 000000004BBC: 105414FA FF015219
	v_mul_u32_u24_dpp v43, v25, v10 row_newbcast:3 row_mask:0xf bank_mask:0xf// 000000004BC4: 105614FA FF015319
	v_mul_u32_u24_dpp v44, v25, v10 row_newbcast:4 row_mask:0xf bank_mask:0xf// 000000004BCC: 105814FA FF015419
	v_mul_u32_u24_dpp v45, v25, v10 row_newbcast:5 row_mask:0xf bank_mask:0xf// 000000004BD4: 105A14FA FF015519
	v_mul_u32_u24_dpp v46, v25, v10 row_newbcast:6 row_mask:0xf bank_mask:0xf// 000000004BDC: 105C14FA FF015619
	v_mul_u32_u24_dpp v47, v25, v10 row_newbcast:7 row_mask:0xf bank_mask:0xf// 000000004BE4: 105E14FA FF015719
	v_mul_u32_u24_dpp v48, v25, v10 row_newbcast:8 row_mask:0xf bank_mask:0xf// 000000004BEC: 106014FA FF015819
	v_mul_u32_u24_dpp v49, v25, v10 row_newbcast:9 row_mask:0xf bank_mask:0xf// 000000004BF4: 106214FA FF015919
	v_mul_u32_u24_dpp v50, v25, v10 row_newbcast:10 row_mask:0xf bank_mask:0xf// 000000004BFC: 106414FA FF015A19
	v_mul_u32_u24_dpp v51, v25, v10 row_newbcast:11 row_mask:0xf bank_mask:0xf// 000000004C04: 106614FA FF015B19
	v_mul_u32_u24_dpp v52, v25, v10 row_newbcast:12 row_mask:0xf bank_mask:0xf// 000000004C0C: 106814FA FF015C19
	v_mul_u32_u24_dpp v53, v25, v10 row_newbcast:13 row_mask:0xf bank_mask:0xf// 000000004C14: 106A14FA FF015D19
	v_mul_u32_u24_dpp v54, v25, v10 row_newbcast:14 row_mask:0xf bank_mask:0xf// 000000004C1C: 106C14FA FF015E19
	v_mul_u32_u24_dpp v55, v25, v10 row_newbcast:15 row_mask:0xf bank_mask:0xf// 000000004C24: 106E14FA FF015F19
	s_mov_b32 s56, m0                                          // 000000004C2C: BEB8007C
	s_set_gpr_idx_on s51, gpr_idx(SRC0)                        // 000000004C30: BF110133
	v_add_u32_e32 v36, v40, v3                                 // 000000004C34: 68480728
	v_add_u32_e32 v37, v41, v3                                 // 000000004C38: 684A0729
	v_add_u32_e32 v38, v42, v3                                 // 000000004C3C: 684C072A
	v_add_u32_e32 v39, v43, v3                                 // 000000004C40: 684E072B
	s_set_gpr_idx_off                                          // 000000004C44: BF9C0000
	s_mov_b32 m0, s56                                          // 000000004C48: BEFC0038
	v_add_u32_e32 v40, v40, v2                                 // 000000004C4C: 68500528
	v_add_u32_e32 v41, v41, v2                                 // 000000004C50: 68520529
	v_add_u32_e32 v42, v42, v2                                 // 000000004C54: 6854052A
	v_add_u32_e32 v43, v43, v2                                 // 000000004C58: 6856052B
	v_add_u32_e32 v44, v44, v2                                 // 000000004C5C: 6858052C
	v_add_u32_e32 v45, v45, v2                                 // 000000004C60: 685A052D
	v_add_u32_e32 v46, v46, v2                                 // 000000004C64: 685C052E
	v_add_u32_e32 v47, v47, v2                                 // 000000004C68: 685E052F
	v_add_u32_e32 v48, v48, v2                                 // 000000004C6C: 68600530
	v_add_u32_e32 v49, v49, v2                                 // 000000004C70: 68620531
	v_add_u32_e32 v50, v50, v2                                 // 000000004C74: 68640532
	v_add_u32_e32 v51, v51, v2                                 // 000000004C78: 68660533
	v_add_u32_e32 v52, v52, v2                                 // 000000004C7C: 68680534
	v_add_u32_e32 v53, v53, v2                                 // 000000004C80: 686A0535
	v_add_u32_e32 v54, v54, v2                                 // 000000004C84: 686C0536
	v_add_u32_e32 v55, v55, v2                                 // 000000004C88: 686E0537
	s_waitcnt lgkmcnt(0)                                       // 000000004C8C: BF8CC07F
	s_waitcnt vmcnt(37)                                        // 000000004C90: BF8C8F75
	v_mfma_f32_16x16x32_fp8_fp8 v[92:95], a[108:109], v[88:89], v[92:95]// 000000004C94: D3F3005C 0D72B16C
	ds_write_b32 v20, v172                                     // 000000004C9C: D81A0000 0000AC14
	ds_write_b32 v20, v173 offset:64                           // 000000004CA4: D81A0040 0000AD14
	v_mfma_f32_16x16x32_fp8_fp8 v[92:95], a[110:111], v[90:91], v[92:95]// 000000004CAC: D3F3005C 0D72B56E
	v_mfma_f32_16x16x32_fp8_fp8 v[96:99], a[112:113], v[88:89], v[96:99]// 000000004CB4: D3F30060 0D82B170
	ds_write_b32 v20, v174 offset:4128                         // 000000004CBC: D81A1020 0000AE14
	ds_write_b32 v20, v175 offset:4192                         // 000000004CC4: D81A1060 0000AF14
	v_mfma_f32_16x16x32_fp8_fp8 v[96:99], a[114:115], v[90:91], v[96:99]// 000000004CCC: D3F30060 0D82B572
	v_mfma_f32_16x16x32_fp8_fp8 v[100:103], a[116:117], v[88:89], v[100:103]// 000000004CD4: D3F30064 0D92B174
	ds_write_b32 v20, v176 offset:8256                         // 000000004CDC: D81A2040 0000B014
	ds_write_b32 v20, v177 offset:8320                         // 000000004CE4: D81A2080 0000B114
	v_mfma_f32_16x16x32_fp8_fp8 v[100:103], a[118:119], v[90:91], v[100:103]// 000000004CEC: D3F30064 0D92B576
	v_mfma_f32_16x16x32_fp8_fp8 v[104:107], a[120:121], v[88:89], v[104:107]// 000000004CF4: D3F30068 0DA2B178
	ds_write_b32 v20, v178 offset:12384                        // 000000004CFC: D81A3060 0000B214
	ds_write_b32 v20, v179 offset:12448                        // 000000004D04: D81A30A0 0000B314
	v_mfma_f32_16x16x32_fp8_fp8 v[104:107], a[122:123], v[90:91], v[104:107]// 000000004D0C: D3F30068 0DA2B57A
	v_mfma_f32_16x16x32_fp8_fp8 v[108:111], a[124:125], v[88:89], v[108:111]// 000000004D14: D3F3006C 0DB2B17C
	ds_write_b32 v20, v180 offset:512                          // 000000004D1C: D81A0200 0000B414
	ds_write_b32 v20, v181 offset:576                          // 000000004D24: D81A0240 0000B514
	v_mfma_f32_16x16x32_fp8_fp8 v[108:111], a[126:127], v[90:91], v[108:111]// 000000004D2C: D3F3006C 0DB2B57E
	v_mfma_f32_16x16x32_fp8_fp8 v[112:115], a[128:129], v[88:89], v[112:115]// 000000004D34: D3F30070 0DC2B180
	ds_write_b32 v20, v182 offset:4640                         // 000000004D3C: D81A1220 0000B614
	ds_write_b32 v20, v183 offset:4704                         // 000000004D44: D81A1260 0000B714
	v_mfma_f32_16x16x32_fp8_fp8 v[112:115], a[130:131], v[90:91], v[112:115]// 000000004D4C: D3F30070 0DC2B582
	v_mfma_f32_16x16x32_fp8_fp8 v[116:119], a[132:133], v[88:89], v[116:119]// 000000004D54: D3F30074 0DD2B184
	ds_write_b32 v20, v184 offset:8768                         // 000000004D5C: D81A2240 0000B814
	ds_write_b32 v20, v185 offset:8832                         // 000000004D64: D81A2280 0000B914
	v_mfma_f32_16x16x32_fp8_fp8 v[116:119], a[134:135], v[90:91], v[116:119]// 000000004D6C: D3F30074 0DD2B586
	v_mfma_f32_16x16x32_fp8_fp8 v[120:123], a[136:137], v[88:89], v[120:123]// 000000004D74: D3F30078 0DE2B188
	ds_write_b32 v20, v186 offset:12896                        // 000000004D7C: D81A3260 0000BA14
	ds_write_b32 v20, v187 offset:12960                        // 000000004D84: D81A32A0 0000BB14
	v_mfma_f32_16x16x32_fp8_fp8 v[120:123], a[138:139], v[90:91], v[120:123]// 000000004D8C: D3F30078 0DE2B58A
	ds_read_b64 a[104:105], v23 offset:16512                   // 000000004D94: DAEC4080 68000017
	ds_read_b64 a[106:107], v23 offset:16520                   // 000000004D9C: DAEC4088 6A000017
	s_waitcnt lgkmcnt(4)                                       // 000000004DA4: BF8CC47F
	s_barrier                                                  // 000000004DA8: BF8A0000
	ds_read_b128 a[72:75], v22                                 // 000000004DAC: DBFE0000 48000016
	ds_read_b128 a[76:79], v22 offset:64                       // 000000004DB4: DBFE0040 4C000016
	ds_read_b128 a[80:83], v22 offset:128                      // 000000004DBC: DBFE0080 50000016
	ds_read_b128 a[84:87], v22 offset:192                      // 000000004DC4: DBFE00C0 54000016
	ds_read_b128 a[88:91], v22 offset:256                      // 000000004DCC: DBFE0100 58000016
	ds_read_b128 a[92:95], v22 offset:320                      // 000000004DD4: DBFE0140 5C000016
	ds_read_b128 a[96:99], v22 offset:384                      // 000000004DDC: DBFE0180 60000016
	ds_read_b128 a[100:103], v22 offset:448                    // 000000004DE4: DBFE01C0 64000016
	v_perm_b32 v32, v158, v156, s54                            // 000000004DEC: D1ED0020 00DB399E
	v_perm_b32 v33, v158, v156, s55                            // 000000004DF4: D1ED0021 00DF399E
	v_perm_b32 v34, v162, v160, s54                            // 000000004DFC: D1ED0022 00DB41A2
	v_perm_b32 v35, v162, v160, s55                            // 000000004E04: D1ED0023 00DF41A2
	v_perm_b32 v56, v34, v32, s53                              // 000000004E0C: D1ED0038 00D64122
	v_perm_b32 v57, v34, v32, s52                              // 000000004E14: D1ED0039 00D24122
	v_perm_b32 v58, v35, v33, s53                              // 000000004E1C: D1ED003A 00D64323
	v_perm_b32 v59, v35, v33, s52                              // 000000004E24: D1ED003B 00D24323
	v_accvgpr_write_b32 a108, v56                              // 000000004E2C: D3D9406C 18000138
	v_accvgpr_write_b32 a112, v57                              // 000000004E34: D3D94070 18000139
	v_accvgpr_write_b32 a116, v58                              // 000000004E3C: D3D94074 1800013A
	v_accvgpr_write_b32 a120, v59                              // 000000004E44: D3D94078 1800013B
	v_perm_b32 v32, v166, v164, s54                            // 000000004E4C: D1ED0020 00DB49A6
	v_perm_b32 v33, v166, v164, s55                            // 000000004E54: D1ED0021 00DF49A6
	v_perm_b32 v34, v170, v168, s54                            // 000000004E5C: D1ED0022 00DB51AA
	v_perm_b32 v35, v170, v168, s55                            // 000000004E64: D1ED0023 00DF51AA
	v_perm_b32 v56, v34, v32, s53                              // 000000004E6C: D1ED0038 00D64122
	v_perm_b32 v57, v34, v32, s52                              // 000000004E74: D1ED0039 00D24122
	v_perm_b32 v58, v35, v33, s53                              // 000000004E7C: D1ED003A 00D64323
	v_perm_b32 v59, v35, v33, s52                              // 000000004E84: D1ED003B 00D24323
	v_accvgpr_write_b32 a109, v56                              // 000000004E8C: D3D9406D 18000138
	v_accvgpr_write_b32 a113, v57                              // 000000004E94: D3D94071 18000139
	v_accvgpr_write_b32 a117, v58                              // 000000004E9C: D3D94075 1800013A
	v_accvgpr_write_b32 a121, v59                              // 000000004EA4: D3D94079 1800013B
	v_perm_b32 v32, v174, v172, s54                            // 000000004EAC: D1ED0020 00DB59AE
	v_perm_b32 v33, v174, v172, s55                            // 000000004EB4: D1ED0021 00DF59AE
	v_perm_b32 v34, v178, v176, s54                            // 000000004EBC: D1ED0022 00DB61B2
	v_perm_b32 v35, v178, v176, s55                            // 000000004EC4: D1ED0023 00DF61B2
	v_perm_b32 v56, v34, v32, s53                              // 000000004ECC: D1ED0038 00D64122
	v_perm_b32 v57, v34, v32, s52                              // 000000004ED4: D1ED0039 00D24122
	v_perm_b32 v58, v35, v33, s53                              // 000000004EDC: D1ED003A 00D64323
	v_perm_b32 v59, v35, v33, s52                              // 000000004EE4: D1ED003B 00D24323
	v_accvgpr_write_b32 a110, v56                              // 000000004EEC: D3D9406E 18000138
	v_accvgpr_write_b32 a114, v57                              // 000000004EF4: D3D94072 18000139
	v_accvgpr_write_b32 a118, v58                              // 000000004EFC: D3D94076 1800013A
	v_accvgpr_write_b32 a122, v59                              // 000000004F04: D3D9407A 1800013B
	v_perm_b32 v32, v182, v180, s54                            // 000000004F0C: D1ED0020 00DB69B6
	v_perm_b32 v33, v182, v180, s55                            // 000000004F14: D1ED0021 00DF69B6
	v_perm_b32 v34, v186, v184, s54                            // 000000004F1C: D1ED0022 00DB71BA
	v_perm_b32 v35, v186, v184, s55                            // 000000004F24: D1ED0023 00DF71BA
	v_perm_b32 v56, v34, v32, s53                              // 000000004F2C: D1ED0038 00D64122
	v_perm_b32 v57, v34, v32, s52                              // 000000004F34: D1ED0039 00D24122
	v_perm_b32 v58, v35, v33, s53                              // 000000004F3C: D1ED003A 00D64323
	v_perm_b32 v59, v35, v33, s52                              // 000000004F44: D1ED003B 00D24323
	v_accvgpr_write_b32 a111, v56                              // 000000004F4C: D3D9406F 18000138
	v_accvgpr_write_b32 a115, v57                              // 000000004F54: D3D94073 18000139
	v_accvgpr_write_b32 a119, v58                              // 000000004F5C: D3D94077 1800013A
	v_accvgpr_write_b32 a123, v59                              // 000000004F64: D3D9407B 1800013B
	v_perm_b32 v32, v159, v157, s54                            // 000000004F6C: D1ED0020 00DB3B9F
	v_perm_b32 v33, v159, v157, s55                            // 000000004F74: D1ED0021 00DF3B9F
	v_perm_b32 v34, v163, v161, s54                            // 000000004F7C: D1ED0022 00DB43A3
	v_perm_b32 v35, v163, v161, s55                            // 000000004F84: D1ED0023 00DF43A3
	v_perm_b32 v56, v34, v32, s53                              // 000000004F8C: D1ED0038 00D64122
	v_perm_b32 v57, v34, v32, s52                              // 000000004F94: D1ED0039 00D24122
	v_perm_b32 v58, v35, v33, s53                              // 000000004F9C: D1ED003A 00D64323
	v_perm_b32 v59, v35, v33, s52                              // 000000004FA4: D1ED003B 00D24323
	v_accvgpr_write_b32 a124, v56                              // 000000004FAC: D3D9407C 18000138
	v_accvgpr_write_b32 a128, v57                              // 000000004FB4: D3D94080 18000139
	v_accvgpr_write_b32 a132, v58                              // 000000004FBC: D3D94084 1800013A
	v_accvgpr_write_b32 a136, v59                              // 000000004FC4: D3D94088 1800013B
	v_perm_b32 v32, v167, v165, s54                            // 000000004FCC: D1ED0020 00DB4BA7
	v_perm_b32 v33, v167, v165, s55                            // 000000004FD4: D1ED0021 00DF4BA7
	v_perm_b32 v34, v171, v169, s54                            // 000000004FDC: D1ED0022 00DB53AB
	v_perm_b32 v35, v171, v169, s55                            // 000000004FE4: D1ED0023 00DF53AB
	v_perm_b32 v56, v34, v32, s53                              // 000000004FEC: D1ED0038 00D64122
	v_perm_b32 v57, v34, v32, s52                              // 000000004FF4: D1ED0039 00D24122
	v_perm_b32 v58, v35, v33, s53                              // 000000004FFC: D1ED003A 00D64323
	v_perm_b32 v59, v35, v33, s52                              // 000000005004: D1ED003B 00D24323
	v_accvgpr_write_b32 a125, v56                              // 00000000500C: D3D9407D 18000138
	v_accvgpr_write_b32 a129, v57                              // 000000005014: D3D94081 18000139
	v_accvgpr_write_b32 a133, v58                              // 00000000501C: D3D94085 1800013A
	v_accvgpr_write_b32 a137, v59                              // 000000005024: D3D94089 1800013B
	v_perm_b32 v32, v175, v173, s54                            // 00000000502C: D1ED0020 00DB5BAF
	v_perm_b32 v33, v175, v173, s55                            // 000000005034: D1ED0021 00DF5BAF
	v_perm_b32 v34, v179, v177, s54                            // 00000000503C: D1ED0022 00DB63B3
	v_perm_b32 v35, v179, v177, s55                            // 000000005044: D1ED0023 00DF63B3
	v_perm_b32 v56, v34, v32, s53                              // 00000000504C: D1ED0038 00D64122
	v_perm_b32 v57, v34, v32, s52                              // 000000005054: D1ED0039 00D24122
	v_perm_b32 v58, v35, v33, s53                              // 00000000505C: D1ED003A 00D64323
	v_perm_b32 v59, v35, v33, s52                              // 000000005064: D1ED003B 00D24323
	v_accvgpr_write_b32 a126, v56                              // 00000000506C: D3D9407E 18000138
	v_accvgpr_write_b32 a130, v57                              // 000000005074: D3D94082 18000139
	v_accvgpr_write_b32 a134, v58                              // 00000000507C: D3D94086 1800013A
	v_accvgpr_write_b32 a138, v59                              // 000000005084: D3D9408A 1800013B
	v_perm_b32 v32, v183, v181, s54                            // 00000000508C: D1ED0020 00DB6BB7
	v_perm_b32 v33, v183, v181, s55                            // 000000005094: D1ED0021 00DF6BB7
	v_perm_b32 v34, v187, v185, s54                            // 00000000509C: D1ED0022 00DB73BB
	v_perm_b32 v35, v187, v185, s55                            // 0000000050A4: D1ED0023 00DF73BB
	v_perm_b32 v56, v34, v32, s53                              // 0000000050AC: D1ED0038 00D64122
	v_perm_b32 v57, v34, v32, s52                              // 0000000050B4: D1ED0039 00D24122
	v_perm_b32 v58, v35, v33, s53                              // 0000000050BC: D1ED003A 00D64323
	v_perm_b32 v59, v35, v33, s52                              // 0000000050C4: D1ED003B 00D24323
	v_accvgpr_write_b32 a127, v56                              // 0000000050CC: D3D9407F 18000138
	v_accvgpr_write_b32 a131, v57                              // 0000000050D4: D3D94083 18000139
	v_accvgpr_write_b32 a135, v58                              // 0000000050DC: D3D94087 1800013A
	v_accvgpr_write_b32 a139, v59                              // 0000000050E4: D3D9408B 1800013B
	s_addk_i32 s70, 0x1                                        // 0000000050EC: B7460001
	s_cmp_lt_i32 s70, s71                                      // 0000000050F0: BF044746
	s_cbranch_scc0 label_0909                                  // 0000000050F4: BF84FD8B
	s_waitcnt vmcnt(16) lgkmcnt(0)                             // 0000000050F8: BF8C4070
	s_barrier                                                  // 0000000050FC: BF8A0000
	v_mfma_f32_16x16x32_fp8_fp8 v[88:91], a[72:73], a[0:1], 0  // 000000005100: D3F30058 1A020148
	buffer_load_dword v156, v40, s[20:23], 0 offen             // 000000005108: E0501000 80059C28
	buffer_load_dword v157, v40, s[20:23], 0 offen offset:64   // 000000005110: E0501040 80059D28
	v_mfma_f32_16x16x32_fp8_fp8 v[88:91], a[74:75], a[2:3], v[88:91]// 000000005118: D3F30058 1D62054A
	ds_write_b32 v20, v124                                     // 000000005120: D81A0000 00007C14
	ds_write_b32 v20, v125 offset:64                           // 000000005128: D81A0040 00007D14
	v_mfma_f32_16x16x32_fp8_fp8 v[88:91], a[76:77], a[4:5], v[88:91]// 000000005130: D3F30058 1D62094C
	buffer_load_dword v25, v26, s[24:27], 0 offen              // 000000005138: E0501000 8006191A
	v_mfma_f32_16x16x32_fp8_fp8 v[88:91], a[78:79], a[6:7], v[88:91]// 000000005140: D3F30058 1D620D4E
	ds_write_b32 v20, v126 offset:4128                         // 000000005148: D81A1020 00007E14
	ds_write_b32 v20, v127 offset:4192                         // 000000005150: D81A1060 00007F14
	v_mfma_f32_16x16x32_fp8_fp8 v[88:91], a[80:81], a[8:9], v[88:91]// 000000005158: D3F30058 1D621150
	buffer_load_dword v158, v41, s[20:23], 0 offen             // 000000005160: E0501000 80059E29
	buffer_load_dword v159, v41, s[20:23], 0 offen offset:64   // 000000005168: E0501040 80059F29
	v_mfma_f32_16x16x32_fp8_fp8 v[88:91], a[82:83], a[10:11], v[88:91]// 000000005170: D3F30058 1D621552
	ds_write_b32 v20, v128 offset:8256                         // 000000005178: D81A2040 00008014
	ds_write_b32 v20, v129 offset:8320                         // 000000005180: D81A2080 00008114
	v_mfma_f32_16x16x32_fp8_fp8 v[88:91], a[84:85], a[12:13], v[88:91]// 000000005188: D3F30058 1D621954
	v_mfma_f32_16x16x32_fp8_fp8 v[88:91], a[86:87], a[14:15], v[88:91]// 000000005190: D3F30058 1D621D56
	ds_write_b32 v20, v130 offset:12384                        // 000000005198: D81A3060 00008214
	ds_write_b32 v20, v131 offset:12448                        // 0000000051A0: D81A30A0 00008314
	v_mfma_f32_16x16x32_fp8_fp8 v[88:91], a[88:89], a[16:17], v[88:91]// 0000000051A8: D3F30058 1D622158
	buffer_load_dword v160, v42, s[20:23], 0 offen             // 0000000051B0: E0501000 8005A02A
	buffer_load_dword v161, v42, s[20:23], 0 offen offset:64   // 0000000051B8: E0501040 8005A12A
	v_mfma_f32_16x16x32_fp8_fp8 v[88:91], a[90:91], a[18:19], v[88:91]// 0000000051C0: D3F30058 1D62255A
	ds_write_b32 v20, v132 offset:512                          // 0000000051C8: D81A0200 00008414
	ds_write_b32 v20, v133 offset:576                          // 0000000051D0: D81A0240 00008514
	v_mfma_f32_16x16x32_fp8_fp8 v[88:91], a[92:93], a[20:21], v[88:91]// 0000000051D8: D3F30058 1D62295C
	v_mfma_f32_16x16x32_fp8_fp8 v[88:91], a[94:95], a[22:23], v[88:91]// 0000000051E0: D3F30058 1D622D5E
	ds_write_b32 v20, v134 offset:4640                         // 0000000051E8: D81A1220 00008614
	ds_write_b32 v20, v135 offset:4704                         // 0000000051F0: D81A1260 00008714
	v_mfma_f32_16x16x32_fp8_fp8 v[88:91], a[96:97], a[24:25], v[88:91]// 0000000051F8: D3F30058 1D623160
	buffer_load_dword v162, v43, s[20:23], 0 offen             // 000000005200: E0501000 8005A22B
	buffer_load_dword v163, v43, s[20:23], 0 offen offset:64   // 000000005208: E0501040 8005A32B
	v_mfma_f32_16x16x32_fp8_fp8 v[88:91], a[98:99], a[26:27], v[88:91]// 000000005210: D3F30058 1D623562
	ds_write_b32 v20, v136 offset:8768                         // 000000005218: D81A2240 00008814
	ds_write_b32 v20, v137 offset:8832                         // 000000005220: D81A2280 00008914
	v_mfma_f32_16x16x32_fp8_fp8 v[88:91], a[100:101], a[28:29], v[88:91]// 000000005228: D3F30058 1D623964
	v_mfma_f32_16x16x32_fp8_fp8 v[88:91], a[102:103], a[30:31], v[88:91]// 000000005230: D3F30058 1D623D66
	ds_write_b32 v20, v138 offset:12896                        // 000000005238: D81A3260 00008A14
	ds_write_b32 v20, v139 offset:12960                        // 000000005240: D81A32A0 00008B14
	v_mfma_f32_16x16x32_fp8_fp8 v[88:91], a[104:105], a[32:33], v[88:91]// 000000005248: D3F30058 1D624168
	buffer_load_dword v164, v44, s[20:23], 0 offen             // 000000005250: E0501000 8005A42C
	buffer_load_dword v165, v44, s[20:23], 0 offen offset:64   // 000000005258: E0501040 8005A52C
	v_mfma_f32_16x16x32_fp8_fp8 v[88:91], a[106:107], a[34:35], v[88:91]// 000000005260: D3F30058 1D62456A
	buffer_load_dword v166, v45, s[20:23], 0 offen             // 000000005268: E0501000 8005A62D
	buffer_load_dword v167, v45, s[20:23], 0 offen offset:64   // 000000005270: E0501040 8005A72D
	buffer_load_dword v168, v46, s[20:23], 0 offen             // 000000005278: E0501000 8005A82E
	buffer_load_dword v169, v46, s[20:23], 0 offen offset:64   // 000000005280: E0501040 8005A92E
	buffer_load_dword v170, v47, s[20:23], 0 offen             // 000000005288: E0501000 8005AA2F
	buffer_load_dword v171, v47, s[20:23], 0 offen offset:64   // 000000005290: E0501040 8005AB2F
	ds_write_b32 v21, v72 offset:16512                         // 000000005298: D81A4080 00004815
	ds_write_b32 v21, v73 offset:16584                         // 0000000052A0: D81A40C8 00004915
	ds_write_b32 v21, v74 offset:16656                         // 0000000052A8: D81A4110 00004A15
	ds_write_b32 v21, v75 offset:16728                         // 0000000052B0: D81A4158 00004B15
	s_waitcnt lgkmcnt(4)                                       // 0000000052B8: BF8CC47F
	s_barrier                                                  // 0000000052BC: BF8A0000
	v_add_u32_e32 v26, s73, v26                                // 0000000052C0: 68343449
	buffer_load_dword v80, v36, s[20:23], 0 offen              // 0000000052C4: E0501000 80055024
	buffer_load_dword v81, v37, s[20:23], 0 offen              // 0000000052CC: E0501000 80055125
	v_mov_b32_e32 v8, v88                                      // 0000000052D4: 7E100358
	v_max3_f32 v8, v88, v89, v8                                // 0000000052D8: D1D30008 0422B358
	v_max3_f32 v8, v90, v91, v8                                // 0000000052E0: D1D30008 0422B75A
	ds_write_b32 v5, v8 offset:21120                           // 0000000052E8: D81A5280 00000805
	buffer_load_dword v82, v38, s[20:23], 0 offen              // 0000000052F0: E0501000 80055226
	buffer_load_dword v83, v39, s[20:23], 0 offen              // 0000000052F8: E0501000 80055327
	buffer_load_dword v172, v48, s[20:23], 0 offen             // 000000005300: E0501000 8005AC30
	buffer_load_dword v173, v48, s[20:23], 0 offen offset:64   // 000000005308: E0501040 8005AD30
	s_waitcnt lgkmcnt(0)                                       // 000000005310: BF8CC07F
	s_barrier                                                  // 000000005314: BF8A0000
	ds_read_b32 v56, v4 offset:21120                           // 000000005318: D86C5280 38000004
	ds_read_b32 v57, v4 offset:21184                           // 000000005320: D86C52C0 39000004
	ds_read_b32 v58, v4 offset:21248                           // 000000005328: D86C5300 3A000004
	ds_read_b32 v59, v4 offset:21312                           // 000000005330: D86C5340 3B000004
	ds_read_b32 v60, v4 offset:21376                           // 000000005338: D86C5380 3C000004
	ds_read_b32 v61, v4 offset:21440                           // 000000005340: D86C53C0 3D000004
	ds_read_b32 v62, v4 offset:21504                           // 000000005348: D86C5400 3E000004
	ds_read_b32 v63, v4 offset:21568                           // 000000005350: D86C5440 3F000004
	ds_read_b32 v64, v4 offset:21632                           // 000000005358: D86C5480 40000004
	buffer_load_dword v174, v49, s[20:23], 0 offen             // 000000005360: E0501000 8005AE31
	buffer_load_dword v175, v49, s[20:23], 0 offen offset:64   // 000000005368: E0501040 8005AF31
	ds_read_b32 v65, v4 offset:21696                           // 000000005370: D86C54C0 41000004
	ds_read_b32 v66, v4 offset:21760                           // 000000005378: D86C5500 42000004
	ds_read_b32 v67, v4 offset:21824                           // 000000005380: D86C5540 43000004
	ds_read_b32 v68, v4 offset:21888                           // 000000005388: D86C5580 44000004
	ds_read_b32 v69, v4 offset:21952                           // 000000005390: D86C55C0 45000004
	ds_read_b32 v70, v4 offset:22016                           // 000000005398: D86C5600 46000004
	ds_read_b32 v71, v4 offset:22080                           // 0000000053A0: D86C5640 47000004
	buffer_load_dword v176, v50, s[20:23], 0 offen             // 0000000053A8: E0501000 8005B032
	buffer_load_dword v177, v50, s[20:23], 0 offen offset:64   // 0000000053B0: E0501040 8005B132
	s_waitcnt lgkmcnt(0)                                       // 0000000053B8: BF8CC07F
	v_max3_f32 v8, v56, v57, v8                                // 0000000053BC: D1D30008 04227338
	v_max3_f32 v8, v58, v59, v8                                // 0000000053C4: D1D30008 0422773A
	v_max3_f32 v8, v60, v61, v8                                // 0000000053CC: D1D30008 04227B3C
	v_max3_f32 v8, v62, v63, v8                                // 0000000053D4: D1D30008 04227F3E
	v_max3_f32 v8, v64, v65, v8                                // 0000000053DC: D1D30008 04228340
	v_max3_f32 v8, v66, v67, v8                                // 0000000053E4: D1D30008 04228742
	v_max3_f32 v8, v68, v69, v8                                // 0000000053EC: D1D30008 04228B44
	v_max3_f32 v8, v70, v71, v8                                // 0000000053F4: D1D30008 04228F46
	buffer_load_dword v178, v51, s[20:23], 0 offen             // 0000000053FC: E0501000 8005B233
	buffer_load_dword v179, v51, s[20:23], 0 offen offset:64   // 000000005404: E0501040 8005B333
	v_cmp_eq_u32_e64 s[32:33], v11, v12                        // 00000000540C: D0CA0020 0002190B
	v_max_f32_e32 v13, v8, v12                                 // 000000005414: 161A1908
	v_sub_f32_e32 v18, v12, v13                                // 000000005418: 04241B0C
	v_cndmask_b32_e64 v18, v18, 0, s[32:33]                    // 00000000541C: D1000012 00810112
	v_mov_b32_e32 v12, v13                                     // 000000005424: 7E18030D
	v_mul_f32_e32 v9, s5, v13                                  // 000000005428: 0A121A05
	v_mul_f32_e32 v18, s5, v18                                 // 00000000542C: 0A242405
	v_exp_f32_e32 v18, v18                                     // 000000005430: 7E244112
	buffer_load_dword v180, v52, s[20:23], 0 offen             // 000000005434: E0501000 8005B434
	buffer_load_dword v181, v52, s[20:23], 0 offen offset:64   // 00000000543C: E0501040 8005B534
	v_fma_f32 v88, v88, s5, -v9                                // 000000005444: D1CB0058 84240B58
	v_fma_f32 v89, v89, s5, -v9                                // 00000000544C: D1CB0059 84240B59
	v_fma_f32 v90, v90, s5, -v9                                // 000000005454: D1CB005A 84240B5A
	v_fma_f32 v91, v91, s5, -v9                                // 00000000545C: D1CB005B 84240B5B
	v_exp_f32_e32 v88, v88                                     // 000000005464: 7EB04158
	v_exp_f32_e32 v89, v89                                     // 000000005468: 7EB24159
	v_exp_f32_e32 v90, v90                                     // 00000000546C: 7EB4415A
	v_exp_f32_e32 v91, v91                                     // 000000005470: 7EB6415B
	buffer_load_dword v182, v53, s[20:23], 0 offen             // 000000005474: E0501000 8005B635
	buffer_load_dword v183, v53, s[20:23], 0 offen offset:64   // 00000000547C: E0501040 8005B735
	v_mul_f32_e32 v14, v18, v14                                // 000000005484: 0A1C1D12
	v_mov_b32_e32 v15, v88                                     // 000000005488: 7E1E0358
	v_add_f32_e32 v15, v89, v15                                // 00000000548C: 021E1F59
	v_add_f32_e32 v15, v90, v15                                // 000000005490: 021E1F5A
	v_add_f32_e32 v15, v91, v15                                // 000000005494: 021E1F5B
	v_add_f32_e32 v14, v15, v14                                // 000000005498: 021C1D0F
	buffer_load_dword v184, v54, s[20:23], 0 offen             // 00000000549C: E0501000 8005B836
	buffer_load_dword v185, v54, s[20:23], 0 offen offset:64   // 0000000054A4: E0501040 8005B936
	v_cvt_pk_fp8_f32 v88, v88, v89                             // 0000000054AC: D2A20058 0002B358
	v_cvt_pk_fp8_f32 v88, v90, v91 op_sel:[0,0,1]              // 0000000054B4: D2A24058 0002B75A
	ds_write_b32 v7, v88                                       // 0000000054BC: D81A0000 00005807
	v_mov_b32_e32 v32, v18                                     // 0000000054C4: 7E400312
	v_mov_b32_e32 v33, v18                                     // 0000000054C8: 7E420312
	v_pk_mul_f32 v[92:93], v[32:33], v[92:93]                  // 0000000054CC: D3B1405C 1802B920
	v_pk_mul_f32 v[94:95], v[32:33], v[94:95]                  // 0000000054D4: D3B1405E 1802BD20
	v_pk_mul_f32 v[96:97], v[32:33], v[96:97]                  // 0000000054DC: D3B14060 1802C120
	v_pk_mul_f32 v[98:99], v[32:33], v[98:99]                  // 0000000054E4: D3B14062 1802C520
	v_pk_mul_f32 v[100:101], v[32:33], v[100:101]              // 0000000054EC: D3B14064 1802C920
	v_pk_mul_f32 v[102:103], v[32:33], v[102:103]              // 0000000054F4: D3B14066 1802CD20
	v_pk_mul_f32 v[104:105], v[32:33], v[104:105]              // 0000000054FC: D3B14068 1802D120
	v_pk_mul_f32 v[106:107], v[32:33], v[106:107]              // 000000005504: D3B1406A 1802D520
	v_pk_mul_f32 v[108:109], v[32:33], v[108:109]              // 00000000550C: D3B1406C 1802D920
	v_pk_mul_f32 v[110:111], v[32:33], v[110:111]              // 000000005514: D3B1406E 1802DD20
	v_pk_mul_f32 v[112:113], v[32:33], v[112:113]              // 00000000551C: D3B14070 1802E120
	v_pk_mul_f32 v[114:115], v[32:33], v[114:115]              // 000000005524: D3B14072 1802E520
	v_pk_mul_f32 v[116:117], v[32:33], v[116:117]              // 00000000552C: D3B14074 1802E920
	v_pk_mul_f32 v[118:119], v[32:33], v[118:119]              // 000000005534: D3B14076 1802ED20
	v_pk_mul_f32 v[120:121], v[32:33], v[120:121]              // 00000000553C: D3B14078 1802F120
	v_pk_mul_f32 v[122:123], v[32:33], v[122:123]              // 000000005544: D3B1407A 1802F520
	buffer_load_dword v186, v55, s[20:23], 0 offen             // 00000000554C: E0501000 8005BA37
	buffer_load_dword v187, v55, s[20:23], 0 offen offset:64   // 000000005554: E0501040 8005BB37
	s_waitcnt lgkmcnt(0)                                       // 00000000555C: BF8CC07F
	s_barrier                                                  // 000000005560: BF8A0000
	ds_read_b64 v[88:89], v6                                   // 000000005564: D8EC0000 58000006
	ds_read_b64 v[90:91], v6 offset:32                         // 00000000556C: D8EC0020 5A000006
	v_mul_u32_u24_dpp v40, v24, v10 row_newbcast:0 row_mask:0xf bank_mask:0xf// 000000005574: 105014FA FF015018
	v_mul_u32_u24_dpp v41, v24, v10 row_newbcast:1 row_mask:0xf bank_mask:0xf// 00000000557C: 105214FA FF015118
	v_mul_u32_u24_dpp v42, v24, v10 row_newbcast:2 row_mask:0xf bank_mask:0xf// 000000005584: 105414FA FF015218
	v_mul_u32_u24_dpp v43, v24, v10 row_newbcast:3 row_mask:0xf bank_mask:0xf// 00000000558C: 105614FA FF015318
	v_mul_u32_u24_dpp v44, v24, v10 row_newbcast:4 row_mask:0xf bank_mask:0xf// 000000005594: 105814FA FF015418
	v_mul_u32_u24_dpp v45, v24, v10 row_newbcast:5 row_mask:0xf bank_mask:0xf// 00000000559C: 105A14FA FF015518
	v_mul_u32_u24_dpp v46, v24, v10 row_newbcast:6 row_mask:0xf bank_mask:0xf// 0000000055A4: 105C14FA FF015618
	v_mul_u32_u24_dpp v47, v24, v10 row_newbcast:7 row_mask:0xf bank_mask:0xf// 0000000055AC: 105E14FA FF015718
	v_mul_u32_u24_dpp v48, v24, v10 row_newbcast:8 row_mask:0xf bank_mask:0xf// 0000000055B4: 106014FA FF015818
	v_mul_u32_u24_dpp v49, v24, v10 row_newbcast:9 row_mask:0xf bank_mask:0xf// 0000000055BC: 106214FA FF015918
	v_mul_u32_u24_dpp v50, v24, v10 row_newbcast:10 row_mask:0xf bank_mask:0xf// 0000000055C4: 106414FA FF015A18
	v_mul_u32_u24_dpp v51, v24, v10 row_newbcast:11 row_mask:0xf bank_mask:0xf// 0000000055CC: 106614FA FF015B18
	v_mul_u32_u24_dpp v52, v24, v10 row_newbcast:12 row_mask:0xf bank_mask:0xf// 0000000055D4: 106814FA FF015C18
	v_mul_u32_u24_dpp v53, v24, v10 row_newbcast:13 row_mask:0xf bank_mask:0xf// 0000000055DC: 106A14FA FF015D18
	v_mul_u32_u24_dpp v54, v24, v10 row_newbcast:14 row_mask:0xf bank_mask:0xf// 0000000055E4: 106C14FA FF015E18
	v_mul_u32_u24_dpp v55, v24, v10 row_newbcast:15 row_mask:0xf bank_mask:0xf// 0000000055EC: 106E14FA FF015F18
	s_mov_b32 s56, m0                                          // 0000000055F4: BEB8007C
	s_set_gpr_idx_on s51, gpr_idx(SRC0)                        // 0000000055F8: BF110133
	v_add_u32_e32 v36, v40, v3                                 // 0000000055FC: 68480728
	v_add_u32_e32 v37, v41, v3                                 // 000000005600: 684A0729
	v_add_u32_e32 v38, v42, v3                                 // 000000005604: 684C072A
	v_add_u32_e32 v39, v43, v3                                 // 000000005608: 684E072B
	s_set_gpr_idx_off                                          // 00000000560C: BF9C0000
	s_mov_b32 m0, s56                                          // 000000005610: BEFC0038
	v_add_u32_e32 v40, v40, v2                                 // 000000005614: 68500528
	v_add_u32_e32 v41, v41, v2                                 // 000000005618: 68520529
	v_add_u32_e32 v42, v42, v2                                 // 00000000561C: 6854052A
	v_add_u32_e32 v43, v43, v2                                 // 000000005620: 6856052B
	v_add_u32_e32 v44, v44, v2                                 // 000000005624: 6858052C
	v_add_u32_e32 v45, v45, v2                                 // 000000005628: 685A052D
	v_add_u32_e32 v46, v46, v2                                 // 00000000562C: 685C052E
	v_add_u32_e32 v47, v47, v2                                 // 000000005630: 685E052F
	v_add_u32_e32 v48, v48, v2                                 // 000000005634: 68600530
	v_add_u32_e32 v49, v49, v2                                 // 000000005638: 68620531
	v_add_u32_e32 v50, v50, v2                                 // 00000000563C: 68640532
	v_add_u32_e32 v51, v51, v2                                 // 000000005640: 68660533
	v_add_u32_e32 v52, v52, v2                                 // 000000005644: 68680534
	v_add_u32_e32 v53, v53, v2                                 // 000000005648: 686A0535
	v_add_u32_e32 v54, v54, v2                                 // 00000000564C: 686C0536
	v_add_u32_e32 v55, v55, v2                                 // 000000005650: 686E0537
	s_waitcnt lgkmcnt(0)                                       // 000000005654: BF8CC07F
	s_waitcnt vmcnt(37)                                        // 000000005658: BF8C8F75
	v_mfma_f32_16x16x32_fp8_fp8 v[92:95], a[108:109], v[88:89], v[92:95]// 00000000565C: D3F3005C 0D72B16C
	ds_write_b32 v20, v140                                     // 000000005664: D81A0000 00008C14
	ds_write_b32 v20, v141 offset:64                           // 00000000566C: D81A0040 00008D14
	v_mfma_f32_16x16x32_fp8_fp8 v[92:95], a[110:111], v[90:91], v[92:95]// 000000005674: D3F3005C 0D72B56E
	v_mfma_f32_16x16x32_fp8_fp8 v[96:99], a[112:113], v[88:89], v[96:99]// 00000000567C: D3F30060 0D82B170
	ds_write_b32 v20, v142 offset:4128                         // 000000005684: D81A1020 00008E14
	ds_write_b32 v20, v143 offset:4192                         // 00000000568C: D81A1060 00008F14
	v_mfma_f32_16x16x32_fp8_fp8 v[96:99], a[114:115], v[90:91], v[96:99]// 000000005694: D3F30060 0D82B572
	v_mfma_f32_16x16x32_fp8_fp8 v[100:103], a[116:117], v[88:89], v[100:103]// 00000000569C: D3F30064 0D92B174
	ds_write_b32 v20, v144 offset:8256                         // 0000000056A4: D81A2040 00009014
	ds_write_b32 v20, v145 offset:8320                         // 0000000056AC: D81A2080 00009114
	v_mfma_f32_16x16x32_fp8_fp8 v[100:103], a[118:119], v[90:91], v[100:103]// 0000000056B4: D3F30064 0D92B576
	v_mfma_f32_16x16x32_fp8_fp8 v[104:107], a[120:121], v[88:89], v[104:107]// 0000000056BC: D3F30068 0DA2B178
	ds_write_b32 v20, v146 offset:12384                        // 0000000056C4: D81A3060 00009214
	ds_write_b32 v20, v147 offset:12448                        // 0000000056CC: D81A30A0 00009314
	v_mfma_f32_16x16x32_fp8_fp8 v[104:107], a[122:123], v[90:91], v[104:107]// 0000000056D4: D3F30068 0DA2B57A
	v_mfma_f32_16x16x32_fp8_fp8 v[108:111], a[124:125], v[88:89], v[108:111]// 0000000056DC: D3F3006C 0DB2B17C
	ds_write_b32 v20, v148 offset:512                          // 0000000056E4: D81A0200 00009414
	ds_write_b32 v20, v149 offset:576                          // 0000000056EC: D81A0240 00009514
	v_mfma_f32_16x16x32_fp8_fp8 v[108:111], a[126:127], v[90:91], v[108:111]// 0000000056F4: D3F3006C 0DB2B57E
	v_mfma_f32_16x16x32_fp8_fp8 v[112:115], a[128:129], v[88:89], v[112:115]// 0000000056FC: D3F30070 0DC2B180
	ds_write_b32 v20, v150 offset:4640                         // 000000005704: D81A1220 00009614
	ds_write_b32 v20, v151 offset:4704                         // 00000000570C: D81A1260 00009714
	v_mfma_f32_16x16x32_fp8_fp8 v[112:115], a[130:131], v[90:91], v[112:115]// 000000005714: D3F30070 0DC2B582
	v_mfma_f32_16x16x32_fp8_fp8 v[116:119], a[132:133], v[88:89], v[116:119]// 00000000571C: D3F30074 0DD2B184
	ds_write_b32 v20, v152 offset:8768                         // 000000005724: D81A2240 00009814
	ds_write_b32 v20, v153 offset:8832                         // 00000000572C: D81A2280 00009914
	v_mfma_f32_16x16x32_fp8_fp8 v[116:119], a[134:135], v[90:91], v[116:119]// 000000005734: D3F30074 0DD2B586
	v_mfma_f32_16x16x32_fp8_fp8 v[120:123], a[136:137], v[88:89], v[120:123]// 00000000573C: D3F30078 0DE2B188
	ds_write_b32 v20, v154 offset:12896                        // 000000005744: D81A3260 00009A14
	ds_write_b32 v20, v155 offset:12960                        // 00000000574C: D81A32A0 00009B14
	v_mfma_f32_16x16x32_fp8_fp8 v[120:123], a[138:139], v[90:91], v[120:123]// 000000005754: D3F30078 0DE2B58A
	ds_read_b64 a[104:105], v23 offset:16512                   // 00000000575C: DAEC4080 68000017
	ds_read_b64 a[106:107], v23 offset:16520                   // 000000005764: DAEC4088 6A000017
	s_waitcnt lgkmcnt(4)                                       // 00000000576C: BF8CC47F
	s_barrier                                                  // 000000005770: BF8A0000
	ds_read_b128 a[72:75], v22                                 // 000000005774: DBFE0000 48000016
	ds_read_b128 a[76:79], v22 offset:64                       // 00000000577C: DBFE0040 4C000016
	ds_read_b128 a[80:83], v22 offset:128                      // 000000005784: DBFE0080 50000016
	ds_read_b128 a[84:87], v22 offset:192                      // 00000000578C: DBFE00C0 54000016
	ds_read_b128 a[88:91], v22 offset:256                      // 000000005794: DBFE0100 58000016
	ds_read_b128 a[92:95], v22 offset:320                      // 00000000579C: DBFE0140 5C000016
	ds_read_b128 a[96:99], v22 offset:384                      // 0000000057A4: DBFE0180 60000016
	ds_read_b128 a[100:103], v22 offset:448                    // 0000000057AC: DBFE01C0 64000016
	v_perm_b32 v32, v126, v124, s54                            // 0000000057B4: D1ED0020 00DAF97E
	v_perm_b32 v33, v126, v124, s55                            // 0000000057BC: D1ED0021 00DEF97E
	v_perm_b32 v34, v130, v128, s54                            // 0000000057C4: D1ED0022 00DB0182
	v_perm_b32 v35, v130, v128, s55                            // 0000000057CC: D1ED0023 00DF0182
	v_perm_b32 v56, v34, v32, s53                              // 0000000057D4: D1ED0038 00D64122
	v_perm_b32 v57, v34, v32, s52                              // 0000000057DC: D1ED0039 00D24122
	v_perm_b32 v58, v35, v33, s53                              // 0000000057E4: D1ED003A 00D64323
	v_perm_b32 v59, v35, v33, s52                              // 0000000057EC: D1ED003B 00D24323
	v_accvgpr_write_b32 a108, v56                              // 0000000057F4: D3D9406C 18000138
	v_accvgpr_write_b32 a112, v57                              // 0000000057FC: D3D94070 18000139
	v_accvgpr_write_b32 a116, v58                              // 000000005804: D3D94074 1800013A
	v_accvgpr_write_b32 a120, v59                              // 00000000580C: D3D94078 1800013B
	v_perm_b32 v32, v134, v132, s54                            // 000000005814: D1ED0020 00DB0986
	v_perm_b32 v33, v134, v132, s55                            // 00000000581C: D1ED0021 00DF0986
	v_perm_b32 v34, v138, v136, s54                            // 000000005824: D1ED0022 00DB118A
	v_perm_b32 v35, v138, v136, s55                            // 00000000582C: D1ED0023 00DF118A
	v_perm_b32 v56, v34, v32, s53                              // 000000005834: D1ED0038 00D64122
	v_perm_b32 v57, v34, v32, s52                              // 00000000583C: D1ED0039 00D24122
	v_perm_b32 v58, v35, v33, s53                              // 000000005844: D1ED003A 00D64323
	v_perm_b32 v59, v35, v33, s52                              // 00000000584C: D1ED003B 00D24323
	v_accvgpr_write_b32 a109, v56                              // 000000005854: D3D9406D 18000138
	v_accvgpr_write_b32 a113, v57                              // 00000000585C: D3D94071 18000139
	v_accvgpr_write_b32 a117, v58                              // 000000005864: D3D94075 1800013A
	v_accvgpr_write_b32 a121, v59                              // 00000000586C: D3D94079 1800013B
	v_perm_b32 v32, v142, v140, s54                            // 000000005874: D1ED0020 00DB198E
	v_perm_b32 v33, v142, v140, s55                            // 00000000587C: D1ED0021 00DF198E
	v_perm_b32 v34, v146, v144, s54                            // 000000005884: D1ED0022 00DB2192
	v_perm_b32 v35, v146, v144, s55                            // 00000000588C: D1ED0023 00DF2192
	v_perm_b32 v56, v34, v32, s53                              // 000000005894: D1ED0038 00D64122
	v_perm_b32 v57, v34, v32, s52                              // 00000000589C: D1ED0039 00D24122
	v_perm_b32 v58, v35, v33, s53                              // 0000000058A4: D1ED003A 00D64323
	v_perm_b32 v59, v35, v33, s52                              // 0000000058AC: D1ED003B 00D24323
	v_accvgpr_write_b32 a110, v56                              // 0000000058B4: D3D9406E 18000138
	v_accvgpr_write_b32 a114, v57                              // 0000000058BC: D3D94072 18000139
	v_accvgpr_write_b32 a118, v58                              // 0000000058C4: D3D94076 1800013A
	v_accvgpr_write_b32 a122, v59                              // 0000000058CC: D3D9407A 1800013B
	v_perm_b32 v32, v150, v148, s54                            // 0000000058D4: D1ED0020 00DB2996
	v_perm_b32 v33, v150, v148, s55                            // 0000000058DC: D1ED0021 00DF2996
	v_perm_b32 v34, v154, v152, s54                            // 0000000058E4: D1ED0022 00DB319A
	v_perm_b32 v35, v154, v152, s55                            // 0000000058EC: D1ED0023 00DF319A
	v_perm_b32 v56, v34, v32, s53                              // 0000000058F4: D1ED0038 00D64122
	v_perm_b32 v57, v34, v32, s52                              // 0000000058FC: D1ED0039 00D24122
	v_perm_b32 v58, v35, v33, s53                              // 000000005904: D1ED003A 00D64323
	v_perm_b32 v59, v35, v33, s52                              // 00000000590C: D1ED003B 00D24323
	v_accvgpr_write_b32 a111, v56                              // 000000005914: D3D9406F 18000138
	v_accvgpr_write_b32 a115, v57                              // 00000000591C: D3D94073 18000139
	v_accvgpr_write_b32 a119, v58                              // 000000005924: D3D94077 1800013A
	v_accvgpr_write_b32 a123, v59                              // 00000000592C: D3D9407B 1800013B
	v_perm_b32 v32, v127, v125, s54                            // 000000005934: D1ED0020 00DAFB7F
	v_perm_b32 v33, v127, v125, s55                            // 00000000593C: D1ED0021 00DEFB7F
	v_perm_b32 v34, v131, v129, s54                            // 000000005944: D1ED0022 00DB0383
	v_perm_b32 v35, v131, v129, s55                            // 00000000594C: D1ED0023 00DF0383
	v_perm_b32 v56, v34, v32, s53                              // 000000005954: D1ED0038 00D64122
	v_perm_b32 v57, v34, v32, s52                              // 00000000595C: D1ED0039 00D24122
	v_perm_b32 v58, v35, v33, s53                              // 000000005964: D1ED003A 00D64323
	v_perm_b32 v59, v35, v33, s52                              // 00000000596C: D1ED003B 00D24323
	v_accvgpr_write_b32 a124, v56                              // 000000005974: D3D9407C 18000138
	v_accvgpr_write_b32 a128, v57                              // 00000000597C: D3D94080 18000139
	v_accvgpr_write_b32 a132, v58                              // 000000005984: D3D94084 1800013A
	v_accvgpr_write_b32 a136, v59                              // 00000000598C: D3D94088 1800013B
	v_perm_b32 v32, v135, v133, s54                            // 000000005994: D1ED0020 00DB0B87
	v_perm_b32 v33, v135, v133, s55                            // 00000000599C: D1ED0021 00DF0B87
	v_perm_b32 v34, v139, v137, s54                            // 0000000059A4: D1ED0022 00DB138B
	v_perm_b32 v35, v139, v137, s55                            // 0000000059AC: D1ED0023 00DF138B
	v_perm_b32 v56, v34, v32, s53                              // 0000000059B4: D1ED0038 00D64122
	v_perm_b32 v57, v34, v32, s52                              // 0000000059BC: D1ED0039 00D24122
	v_perm_b32 v58, v35, v33, s53                              // 0000000059C4: D1ED003A 00D64323
	v_perm_b32 v59, v35, v33, s52                              // 0000000059CC: D1ED003B 00D24323
	v_accvgpr_write_b32 a125, v56                              // 0000000059D4: D3D9407D 18000138
	v_accvgpr_write_b32 a129, v57                              // 0000000059DC: D3D94081 18000139
	v_accvgpr_write_b32 a133, v58                              // 0000000059E4: D3D94085 1800013A
	v_accvgpr_write_b32 a137, v59                              // 0000000059EC: D3D94089 1800013B
	v_perm_b32 v32, v143, v141, s54                            // 0000000059F4: D1ED0020 00DB1B8F
	v_perm_b32 v33, v143, v141, s55                            // 0000000059FC: D1ED0021 00DF1B8F
	v_perm_b32 v34, v147, v145, s54                            // 000000005A04: D1ED0022 00DB2393
	v_perm_b32 v35, v147, v145, s55                            // 000000005A0C: D1ED0023 00DF2393
	v_perm_b32 v56, v34, v32, s53                              // 000000005A14: D1ED0038 00D64122
	v_perm_b32 v57, v34, v32, s52                              // 000000005A1C: D1ED0039 00D24122
	v_perm_b32 v58, v35, v33, s53                              // 000000005A24: D1ED003A 00D64323
	v_perm_b32 v59, v35, v33, s52                              // 000000005A2C: D1ED003B 00D24323
	v_accvgpr_write_b32 a126, v56                              // 000000005A34: D3D9407E 18000138
	v_accvgpr_write_b32 a130, v57                              // 000000005A3C: D3D94082 18000139
	v_accvgpr_write_b32 a134, v58                              // 000000005A44: D3D94086 1800013A
	v_accvgpr_write_b32 a138, v59                              // 000000005A4C: D3D9408A 1800013B
	v_perm_b32 v32, v151, v149, s54                            // 000000005A54: D1ED0020 00DB2B97
	v_perm_b32 v33, v151, v149, s55                            // 000000005A5C: D1ED0021 00DF2B97
	v_perm_b32 v34, v155, v153, s54                            // 000000005A64: D1ED0022 00DB339B
	v_perm_b32 v35, v155, v153, s55                            // 000000005A6C: D1ED0023 00DF339B
	v_perm_b32 v56, v34, v32, s53                              // 000000005A74: D1ED0038 00D64122
	v_perm_b32 v57, v34, v32, s52                              // 000000005A7C: D1ED0039 00D24122
	v_perm_b32 v58, v35, v33, s53                              // 000000005A84: D1ED003A 00D64323
	v_perm_b32 v59, v35, v33, s52                              // 000000005A8C: D1ED003B 00D24323
	v_accvgpr_write_b32 a127, v56                              // 000000005A94: D3D9407F 18000138
	v_accvgpr_write_b32 a131, v57                              // 000000005A9C: D3D94083 18000139
	v_accvgpr_write_b32 a135, v58                              // 000000005AA4: D3D94087 1800013A
	v_accvgpr_write_b32 a139, v59                              // 000000005AAC: D3D9408B 1800013B
	s_addk_i32 s70, 0x1                                        // 000000005AB4: B7460001
	s_cmp_lt_i32 s70, s71                                      // 000000005AB8: BF044746
	s_cbranch_scc0 label_0909                                  // 000000005ABC: BF84FB19
	s_branch label_090C                                        // 000000005AC0: BF82FB1B

0000000000005ac4 <label_0DF1>:
	s_cmp_eq_i32 s48, 0                                        // 000000005AC4: BF008030
	s_cbranch_scc1 label_106C                                  // 000000005AC8: BF850257

0000000000005acc <label_0DF3>:
	s_and_b32 s56, s71, 1                                      // 000000005ACC: 86388147
	s_cmp_eq_i32 s56, 1                                        // 000000005AD0: BF008138
	s_cbranch_scc1 label_0F20                                  // 000000005AD4: BF85012A
	s_waitcnt vmcnt(0) expcnt(0) lgkmcnt(0)                    // 000000005AD8: BF8C0000
	s_barrier                                                  // 000000005ADC: BF8A0000
	v_mfma_f32_16x16x32_fp8_fp8 v[88:91], a[72:73], a[0:1], 0  // 000000005AE0: D3F30058 1A020148
	v_mfma_f32_16x16x32_fp8_fp8 v[88:91], a[74:75], a[2:3], v[88:91]// 000000005AE8: D3F30058 1D62054A
	v_mfma_f32_16x16x32_fp8_fp8 v[88:91], a[76:77], a[4:5], v[88:91]// 000000005AF0: D3F30058 1D62094C
	v_mfma_f32_16x16x32_fp8_fp8 v[88:91], a[78:79], a[6:7], v[88:91]// 000000005AF8: D3F30058 1D620D4E
	v_mfma_f32_16x16x32_fp8_fp8 v[88:91], a[80:81], a[8:9], v[88:91]// 000000005B00: D3F30058 1D621150
	v_mfma_f32_16x16x32_fp8_fp8 v[88:91], a[82:83], a[10:11], v[88:91]// 000000005B08: D3F30058 1D621552
	v_mfma_f32_16x16x32_fp8_fp8 v[88:91], a[84:85], a[12:13], v[88:91]// 000000005B10: D3F30058 1D621954
	v_mfma_f32_16x16x32_fp8_fp8 v[88:91], a[86:87], a[14:15], v[88:91]// 000000005B18: D3F30058 1D621D56
	v_mfma_f32_16x16x32_fp8_fp8 v[88:91], a[88:89], a[16:17], v[88:91]// 000000005B20: D3F30058 1D622158
	v_mfma_f32_16x16x32_fp8_fp8 v[88:91], a[90:91], a[18:19], v[88:91]// 000000005B28: D3F30058 1D62255A
	v_mfma_f32_16x16x32_fp8_fp8 v[88:91], a[92:93], a[20:21], v[88:91]// 000000005B30: D3F30058 1D62295C
	v_mfma_f32_16x16x32_fp8_fp8 v[88:91], a[94:95], a[22:23], v[88:91]// 000000005B38: D3F30058 1D622D5E
	v_mfma_f32_16x16x32_fp8_fp8 v[88:91], a[96:97], a[24:25], v[88:91]// 000000005B40: D3F30058 1D623160
	v_mfma_f32_16x16x32_fp8_fp8 v[88:91], a[98:99], a[26:27], v[88:91]// 000000005B48: D3F30058 1D623562
	v_mfma_f32_16x16x32_fp8_fp8 v[88:91], a[100:101], a[28:29], v[88:91]// 000000005B50: D3F30058 1D623964
	v_mfma_f32_16x16x32_fp8_fp8 v[88:91], a[102:103], a[30:31], v[88:91]// 000000005B58: D3F30058 1D623D66
	v_mfma_f32_16x16x32_fp8_fp8 v[88:91], a[104:105], a[32:33], v[88:91]// 000000005B60: D3F30058 1D624168
	v_mfma_f32_16x16x32_fp8_fp8 v[88:91], a[106:107], a[34:35], v[88:91]// 000000005B68: D3F30058 1D62456A
	s_nop 8                                                    // 000000005B70: BF800008
	s_and_b32 s56, s48, 0xff                                   // 000000005B74: 8638FF30 000000FF
	v_mov_b32_e32 v43, s56                                     // 000000005B7C: 7E560238
	v_lshrrev_b32_e32 v44, 4, v0                               // 000000005B80: 20580084
	v_mul_i32_i24_e32 v44, 4, v44                              // 000000005B84: 0C585884
	s_mul_i32 s56, s7, 16                                      // 000000005B88: 92389007
	v_add_u32_e32 v44, s56, v44                                // 000000005B8C: 68585838
	v_add_u32_e32 v45, 1, v44                                  // 000000005B90: 685A5881
	v_add_u32_e32 v46, 2, v44                                  // 000000005B94: 685C5882
	v_add_u32_e32 v47, 3, v44                                  // 000000005B98: 685E5883
	v_cmp_lt_u32_e64 s[32:33], v44, v43                        // 000000005B9C: D0C90020 0002572C
	v_add_u32_e32 v44, 64, v44                                 // 000000005BA4: 685858C0
	s_nop 0                                                    // 000000005BA8: BF800000
	v_cndmask_b32_e64 v88, v11, v88, s[32:33]                  // 000000005BAC: D1000058 0082B10B
	v_cmp_lt_u32_e64 s[32:33], v45, v43                        // 000000005BB4: D0C90020 0002572D
	v_add_u32_e32 v45, 64, v45                                 // 000000005BBC: 685A5AC0
	s_nop 0                                                    // 000000005BC0: BF800000
	v_cndmask_b32_e64 v89, v11, v89, s[32:33]                  // 000000005BC4: D1000059 0082B30B
	v_cmp_lt_u32_e64 s[32:33], v46, v43                        // 000000005BCC: D0C90020 0002572E
	v_add_u32_e32 v46, 64, v46                                 // 000000005BD4: 685C5CC0
	s_nop 0                                                    // 000000005BD8: BF800000
	v_cndmask_b32_e64 v90, v11, v90, s[32:33]                  // 000000005BDC: D100005A 0082B50B
	v_cmp_lt_u32_e64 s[32:33], v47, v43                        // 000000005BE4: D0C90020 0002572F
	v_add_u32_e32 v47, 64, v47                                 // 000000005BEC: 685E5EC0
	s_nop 0                                                    // 000000005BF0: BF800000
	v_cndmask_b32_e64 v91, v11, v91, s[32:33]                  // 000000005BF4: D100005B 0082B70B
	v_mov_b32_e32 v8, v88                                      // 000000005BFC: 7E100358
	v_max3_f32 v8, v88, v89, v8                                // 000000005C00: D1D30008 0422B358
	v_max3_f32 v8, v90, v91, v8                                // 000000005C08: D1D30008 0422B75A
	ds_write_b32 v5, v8 offset:21120                           // 000000005C10: D81A5280 00000805
	s_waitcnt lgkmcnt(0)                                       // 000000005C18: BF8CC07F
	s_barrier                                                  // 000000005C1C: BF8A0000
	ds_read_b32 v56, v4 offset:21120                           // 000000005C20: D86C5280 38000004
	ds_read_b32 v57, v4 offset:21184                           // 000000005C28: D86C52C0 39000004
	ds_read_b32 v58, v4 offset:21248                           // 000000005C30: D86C5300 3A000004
	ds_read_b32 v59, v4 offset:21312                           // 000000005C38: D86C5340 3B000004
	ds_read_b32 v60, v4 offset:21376                           // 000000005C40: D86C5380 3C000004
	ds_read_b32 v61, v4 offset:21440                           // 000000005C48: D86C53C0 3D000004
	ds_read_b32 v62, v4 offset:21504                           // 000000005C50: D86C5400 3E000004
	ds_read_b32 v63, v4 offset:21568                           // 000000005C58: D86C5440 3F000004
	ds_read_b32 v64, v4 offset:21632                           // 000000005C60: D86C5480 40000004
	ds_read_b32 v65, v4 offset:21696                           // 000000005C68: D86C54C0 41000004
	ds_read_b32 v66, v4 offset:21760                           // 000000005C70: D86C5500 42000004
	ds_read_b32 v67, v4 offset:21824                           // 000000005C78: D86C5540 43000004
	ds_read_b32 v68, v4 offset:21888                           // 000000005C80: D86C5580 44000004
	ds_read_b32 v69, v4 offset:21952                           // 000000005C88: D86C55C0 45000004
	ds_read_b32 v70, v4 offset:22016                           // 000000005C90: D86C5600 46000004
	ds_read_b32 v71, v4 offset:22080                           // 000000005C98: D86C5640 47000004
	s_waitcnt lgkmcnt(0)                                       // 000000005CA0: BF8CC07F
	v_max3_f32 v8, v56, v57, v8                                // 000000005CA4: D1D30008 04227338
	v_max3_f32 v8, v58, v59, v8                                // 000000005CAC: D1D30008 0422773A
	v_max3_f32 v8, v60, v61, v8                                // 000000005CB4: D1D30008 04227B3C
	v_max3_f32 v8, v62, v63, v8                                // 000000005CBC: D1D30008 04227F3E
	v_max3_f32 v8, v64, v65, v8                                // 000000005CC4: D1D30008 04228340
	v_max3_f32 v8, v66, v67, v8                                // 000000005CCC: D1D30008 04228742
	v_max3_f32 v8, v68, v69, v8                                // 000000005CD4: D1D30008 04228B44
	v_max3_f32 v8, v70, v71, v8                                // 000000005CDC: D1D30008 04228F46
	v_cmp_eq_u32_e64 s[32:33], v11, v12                        // 000000005CE4: D0CA0020 0002190B
	v_max_f32_e32 v13, v8, v12                                 // 000000005CEC: 161A1908
	v_sub_f32_e32 v18, v12, v13                                // 000000005CF0: 04241B0C
	v_cndmask_b32_e64 v18, v18, 0, s[32:33]                    // 000000005CF4: D1000012 00810112
	v_mov_b32_e32 v12, v13                                     // 000000005CFC: 7E18030D
	v_mul_f32_e32 v9, s5, v13                                  // 000000005D00: 0A121A05
	v_mul_f32_e32 v18, s5, v18                                 // 000000005D04: 0A242405
	v_exp_f32_e32 v18, v18                                     // 000000005D08: 7E244112
	v_fma_f32 v88, v88, s5, -v9                                // 000000005D0C: D1CB0058 84240B58
	v_fma_f32 v89, v89, s5, -v9                                // 000000005D14: D1CB0059 84240B59
	v_fma_f32 v90, v90, s5, -v9                                // 000000005D1C: D1CB005A 84240B5A
	v_fma_f32 v91, v91, s5, -v9                                // 000000005D24: D1CB005B 84240B5B
	v_exp_f32_e32 v88, v88                                     // 000000005D2C: 7EB04158
	v_exp_f32_e32 v89, v89                                     // 000000005D30: 7EB24159
	v_exp_f32_e32 v90, v90                                     // 000000005D34: 7EB4415A
	v_exp_f32_e32 v91, v91                                     // 000000005D38: 7EB6415B
	v_mul_f32_e32 v14, v18, v14                                // 000000005D3C: 0A1C1D12
	v_mov_b32_e32 v15, v88                                     // 000000005D40: 7E1E0358
	v_add_f32_e32 v15, v89, v15                                // 000000005D44: 021E1F59
	v_add_f32_e32 v15, v90, v15                                // 000000005D48: 021E1F5A
	v_add_f32_e32 v15, v91, v15                                // 000000005D4C: 021E1F5B
	v_add_f32_e32 v14, v15, v14                                // 000000005D50: 021C1D0F
	v_cvt_pk_fp8_f32 v88, v88, v89                             // 000000005D54: D2A20058 0002B358
	v_cvt_pk_fp8_f32 v88, v90, v91 op_sel:[0,0,1]              // 000000005D5C: D2A24058 0002B75A
	ds_write_b32 v7, v88                                       // 000000005D64: D81A0000 00005807
	v_mov_b32_e32 v32, v18                                     // 000000005D6C: 7E400312
	v_mov_b32_e32 v33, v18                                     // 000000005D70: 7E420312
	v_pk_mul_f32 v[92:93], v[32:33], v[92:93]                  // 000000005D74: D3B1405C 1802B920
	v_pk_mul_f32 v[94:95], v[32:33], v[94:95]                  // 000000005D7C: D3B1405E 1802BD20
	v_pk_mul_f32 v[96:97], v[32:33], v[96:97]                  // 000000005D84: D3B14060 1802C120
	v_pk_mul_f32 v[98:99], v[32:33], v[98:99]                  // 000000005D8C: D3B14062 1802C520
	v_pk_mul_f32 v[100:101], v[32:33], v[100:101]              // 000000005D94: D3B14064 1802C920
	v_pk_mul_f32 v[102:103], v[32:33], v[102:103]              // 000000005D9C: D3B14066 1802CD20
	v_pk_mul_f32 v[104:105], v[32:33], v[104:105]              // 000000005DA4: D3B14068 1802D120
	v_pk_mul_f32 v[106:107], v[32:33], v[106:107]              // 000000005DAC: D3B1406A 1802D520
	v_pk_mul_f32 v[108:109], v[32:33], v[108:109]              // 000000005DB4: D3B1406C 1802D920
	v_pk_mul_f32 v[110:111], v[32:33], v[110:111]              // 000000005DBC: D3B1406E 1802DD20
	v_pk_mul_f32 v[112:113], v[32:33], v[112:113]              // 000000005DC4: D3B14070 1802E120
	v_pk_mul_f32 v[114:115], v[32:33], v[114:115]              // 000000005DCC: D3B14072 1802E520
	v_pk_mul_f32 v[116:117], v[32:33], v[116:117]              // 000000005DD4: D3B14074 1802E920
	v_pk_mul_f32 v[118:119], v[32:33], v[118:119]              // 000000005DDC: D3B14076 1802ED20
	v_pk_mul_f32 v[120:121], v[32:33], v[120:121]              // 000000005DE4: D3B14078 1802F120
	v_pk_mul_f32 v[122:123], v[32:33], v[122:123]              // 000000005DEC: D3B1407A 1802F520
	s_waitcnt lgkmcnt(0)                                       // 000000005DF4: BF8CC07F
	s_barrier                                                  // 000000005DF8: BF8A0000
	ds_read_b64 v[88:89], v6                                   // 000000005DFC: D8EC0000 58000006
	ds_read_b64 v[90:91], v6 offset:32                         // 000000005E04: D8EC0020 5A000006
	v_mul_u32_u24_dpp v40, v25, v10 row_newbcast:0 row_mask:0xf bank_mask:0xf// 000000005E0C: 105014FA FF015019
	v_mul_u32_u24_dpp v41, v25, v10 row_newbcast:1 row_mask:0xf bank_mask:0xf// 000000005E14: 105214FA FF015119
	v_mul_u32_u24_dpp v42, v25, v10 row_newbcast:2 row_mask:0xf bank_mask:0xf// 000000005E1C: 105414FA FF015219
	v_mul_u32_u24_dpp v43, v25, v10 row_newbcast:3 row_mask:0xf bank_mask:0xf// 000000005E24: 105614FA FF015319
	v_mul_u32_u24_dpp v44, v25, v10 row_newbcast:4 row_mask:0xf bank_mask:0xf// 000000005E2C: 105814FA FF015419
	v_mul_u32_u24_dpp v45, v25, v10 row_newbcast:5 row_mask:0xf bank_mask:0xf// 000000005E34: 105A14FA FF015519
	v_mul_u32_u24_dpp v46, v25, v10 row_newbcast:6 row_mask:0xf bank_mask:0xf// 000000005E3C: 105C14FA FF015619
	v_mul_u32_u24_dpp v47, v25, v10 row_newbcast:7 row_mask:0xf bank_mask:0xf// 000000005E44: 105E14FA FF015719
	v_mul_u32_u24_dpp v48, v25, v10 row_newbcast:8 row_mask:0xf bank_mask:0xf// 000000005E4C: 106014FA FF015819
	v_mul_u32_u24_dpp v49, v25, v10 row_newbcast:9 row_mask:0xf bank_mask:0xf// 000000005E54: 106214FA FF015919
	v_mul_u32_u24_dpp v50, v25, v10 row_newbcast:10 row_mask:0xf bank_mask:0xf// 000000005E5C: 106414FA FF015A19
	v_mul_u32_u24_dpp v51, v25, v10 row_newbcast:11 row_mask:0xf bank_mask:0xf// 000000005E64: 106614FA FF015B19
	v_mul_u32_u24_dpp v52, v25, v10 row_newbcast:12 row_mask:0xf bank_mask:0xf// 000000005E6C: 106814FA FF015C19
	v_mul_u32_u24_dpp v53, v25, v10 row_newbcast:13 row_mask:0xf bank_mask:0xf// 000000005E74: 106A14FA FF015D19
	v_mul_u32_u24_dpp v54, v25, v10 row_newbcast:14 row_mask:0xf bank_mask:0xf// 000000005E7C: 106C14FA FF015E19
	v_mul_u32_u24_dpp v55, v25, v10 row_newbcast:15 row_mask:0xf bank_mask:0xf// 000000005E84: 106E14FA FF015F19
	s_mov_b32 s56, m0                                          // 000000005E8C: BEB8007C
	s_set_gpr_idx_on s51, gpr_idx(SRC0)                        // 000000005E90: BF110133
	v_add_u32_e32 v36, v40, v3                                 // 000000005E94: 68480728
	v_add_u32_e32 v37, v41, v3                                 // 000000005E98: 684A0729
	v_add_u32_e32 v38, v42, v3                                 // 000000005E9C: 684C072A
	v_add_u32_e32 v39, v43, v3                                 // 000000005EA0: 684E072B
	s_set_gpr_idx_off                                          // 000000005EA4: BF9C0000
	s_mov_b32 m0, s56                                          // 000000005EA8: BEFC0038
	v_add_u32_e32 v40, v40, v2                                 // 000000005EAC: 68500528
	v_add_u32_e32 v41, v41, v2                                 // 000000005EB0: 68520529
	v_add_u32_e32 v42, v42, v2                                 // 000000005EB4: 6854052A
	v_add_u32_e32 v43, v43, v2                                 // 000000005EB8: 6856052B
	v_add_u32_e32 v44, v44, v2                                 // 000000005EBC: 6858052C
	v_add_u32_e32 v45, v45, v2                                 // 000000005EC0: 685A052D
	v_add_u32_e32 v46, v46, v2                                 // 000000005EC4: 685C052E
	v_add_u32_e32 v47, v47, v2                                 // 000000005EC8: 685E052F
	v_add_u32_e32 v48, v48, v2                                 // 000000005ECC: 68600530
	v_add_u32_e32 v49, v49, v2                                 // 000000005ED0: 68620531
	v_add_u32_e32 v50, v50, v2                                 // 000000005ED4: 68640532
	v_add_u32_e32 v51, v51, v2                                 // 000000005ED8: 68660533
	v_add_u32_e32 v52, v52, v2                                 // 000000005EDC: 68680534
	v_add_u32_e32 v53, v53, v2                                 // 000000005EE0: 686A0535
	v_add_u32_e32 v54, v54, v2                                 // 000000005EE4: 686C0536
	v_add_u32_e32 v55, v55, v2                                 // 000000005EE8: 686E0537
	s_waitcnt lgkmcnt(0)                                       // 000000005EEC: BF8CC07F
	s_waitcnt vmcnt(0)                                         // 000000005EF0: BF8C0F70
	s_barrier                                                  // 000000005EF4: BF8A0000
	v_mfma_f32_16x16x32_fp8_fp8 v[92:95], a[108:109], v[88:89], v[92:95]// 000000005EF8: D3F3005C 0D72B16C
	v_mfma_f32_16x16x32_fp8_fp8 v[92:95], a[110:111], v[90:91], v[92:95]// 000000005F00: D3F3005C 0D72B56E
	v_mfma_f32_16x16x32_fp8_fp8 v[96:99], a[112:113], v[88:89], v[96:99]// 000000005F08: D3F30060 0D82B170
	v_mfma_f32_16x16x32_fp8_fp8 v[96:99], a[114:115], v[90:91], v[96:99]// 000000005F10: D3F30060 0D82B572
	v_mfma_f32_16x16x32_fp8_fp8 v[100:103], a[116:117], v[88:89], v[100:103]// 000000005F18: D3F30064 0D92B174
	v_mfma_f32_16x16x32_fp8_fp8 v[100:103], a[118:119], v[90:91], v[100:103]// 000000005F20: D3F30064 0D92B576
	v_mfma_f32_16x16x32_fp8_fp8 v[104:107], a[120:121], v[88:89], v[104:107]// 000000005F28: D3F30068 0DA2B178
	v_mfma_f32_16x16x32_fp8_fp8 v[104:107], a[122:123], v[90:91], v[104:107]// 000000005F30: D3F30068 0DA2B57A
	v_mfma_f32_16x16x32_fp8_fp8 v[108:111], a[124:125], v[88:89], v[108:111]// 000000005F38: D3F3006C 0DB2B17C
	v_mfma_f32_16x16x32_fp8_fp8 v[108:111], a[126:127], v[90:91], v[108:111]// 000000005F40: D3F3006C 0DB2B57E
	v_mfma_f32_16x16x32_fp8_fp8 v[112:115], a[128:129], v[88:89], v[112:115]// 000000005F48: D3F30070 0DC2B180
	v_mfma_f32_16x16x32_fp8_fp8 v[112:115], a[130:131], v[90:91], v[112:115]// 000000005F50: D3F30070 0DC2B582
	v_mfma_f32_16x16x32_fp8_fp8 v[116:119], a[132:133], v[88:89], v[116:119]// 000000005F58: D3F30074 0DD2B184
	v_mfma_f32_16x16x32_fp8_fp8 v[116:119], a[134:135], v[90:91], v[116:119]// 000000005F60: D3F30074 0DD2B586
	v_mfma_f32_16x16x32_fp8_fp8 v[120:123], a[136:137], v[88:89], v[120:123]// 000000005F68: D3F30078 0DE2B188
	v_mfma_f32_16x16x32_fp8_fp8 v[120:123], a[138:139], v[90:91], v[120:123]// 000000005F70: D3F30078 0DE2B58A
	s_nop 8                                                    // 000000005F78: BF800008
	s_branch label_106C                                        // 000000005F7C: BF82012A

0000000000005f80 <label_0F20>:
	s_waitcnt vmcnt(0) expcnt(0) lgkmcnt(0)                    // 000000005F80: BF8C0000
	s_barrier                                                  // 000000005F84: BF8A0000
	v_mfma_f32_16x16x32_fp8_fp8 v[88:91], a[72:73], a[0:1], 0  // 000000005F88: D3F30058 1A020148
	v_mfma_f32_16x16x32_fp8_fp8 v[88:91], a[74:75], a[2:3], v[88:91]// 000000005F90: D3F30058 1D62054A
	v_mfma_f32_16x16x32_fp8_fp8 v[88:91], a[76:77], a[4:5], v[88:91]// 000000005F98: D3F30058 1D62094C
	v_mfma_f32_16x16x32_fp8_fp8 v[88:91], a[78:79], a[6:7], v[88:91]// 000000005FA0: D3F30058 1D620D4E
	v_mfma_f32_16x16x32_fp8_fp8 v[88:91], a[80:81], a[8:9], v[88:91]// 000000005FA8: D3F30058 1D621150
	v_mfma_f32_16x16x32_fp8_fp8 v[88:91], a[82:83], a[10:11], v[88:91]// 000000005FB0: D3F30058 1D621552
	v_mfma_f32_16x16x32_fp8_fp8 v[88:91], a[84:85], a[12:13], v[88:91]// 000000005FB8: D3F30058 1D621954
	v_mfma_f32_16x16x32_fp8_fp8 v[88:91], a[86:87], a[14:15], v[88:91]// 000000005FC0: D3F30058 1D621D56
	v_mfma_f32_16x16x32_fp8_fp8 v[88:91], a[88:89], a[16:17], v[88:91]// 000000005FC8: D3F30058 1D622158
	v_mfma_f32_16x16x32_fp8_fp8 v[88:91], a[90:91], a[18:19], v[88:91]// 000000005FD0: D3F30058 1D62255A
	v_mfma_f32_16x16x32_fp8_fp8 v[88:91], a[92:93], a[20:21], v[88:91]// 000000005FD8: D3F30058 1D62295C
	v_mfma_f32_16x16x32_fp8_fp8 v[88:91], a[94:95], a[22:23], v[88:91]// 000000005FE0: D3F30058 1D622D5E
	v_mfma_f32_16x16x32_fp8_fp8 v[88:91], a[96:97], a[24:25], v[88:91]// 000000005FE8: D3F30058 1D623160
	v_mfma_f32_16x16x32_fp8_fp8 v[88:91], a[98:99], a[26:27], v[88:91]// 000000005FF0: D3F30058 1D623562
	v_mfma_f32_16x16x32_fp8_fp8 v[88:91], a[100:101], a[28:29], v[88:91]// 000000005FF8: D3F30058 1D623964
	v_mfma_f32_16x16x32_fp8_fp8 v[88:91], a[102:103], a[30:31], v[88:91]// 000000006000: D3F30058 1D623D66
	v_mfma_f32_16x16x32_fp8_fp8 v[88:91], a[104:105], a[32:33], v[88:91]// 000000006008: D3F30058 1D624168
	v_mfma_f32_16x16x32_fp8_fp8 v[88:91], a[106:107], a[34:35], v[88:91]// 000000006010: D3F30058 1D62456A
	s_nop 8                                                    // 000000006018: BF800008
	s_and_b32 s56, s48, 0xff                                   // 00000000601C: 8638FF30 000000FF
	v_mov_b32_e32 v43, s56                                     // 000000006024: 7E560238
	v_lshrrev_b32_e32 v44, 4, v0                               // 000000006028: 20580084
	v_mul_i32_i24_e32 v44, 4, v44                              // 00000000602C: 0C585884
	s_mul_i32 s56, s7, 16                                      // 000000006030: 92389007
	v_add_u32_e32 v44, s56, v44                                // 000000006034: 68585838
	v_add_u32_e32 v45, 1, v44                                  // 000000006038: 685A5881
	v_add_u32_e32 v46, 2, v44                                  // 00000000603C: 685C5882
	v_add_u32_e32 v47, 3, v44                                  // 000000006040: 685E5883
	v_cmp_lt_u32_e64 s[32:33], v44, v43                        // 000000006044: D0C90020 0002572C
	v_add_u32_e32 v44, 64, v44                                 // 00000000604C: 685858C0
	s_nop 0                                                    // 000000006050: BF800000
	v_cndmask_b32_e64 v88, v11, v88, s[32:33]                  // 000000006054: D1000058 0082B10B
	v_cmp_lt_u32_e64 s[32:33], v45, v43                        // 00000000605C: D0C90020 0002572D
	v_add_u32_e32 v45, 64, v45                                 // 000000006064: 685A5AC0
	s_nop 0                                                    // 000000006068: BF800000
	v_cndmask_b32_e64 v89, v11, v89, s[32:33]                  // 00000000606C: D1000059 0082B30B
	v_cmp_lt_u32_e64 s[32:33], v46, v43                        // 000000006074: D0C90020 0002572E
	v_add_u32_e32 v46, 64, v46                                 // 00000000607C: 685C5CC0
	s_nop 0                                                    // 000000006080: BF800000
	v_cndmask_b32_e64 v90, v11, v90, s[32:33]                  // 000000006084: D100005A 0082B50B
	v_cmp_lt_u32_e64 s[32:33], v47, v43                        // 00000000608C: D0C90020 0002572F
	v_add_u32_e32 v47, 64, v47                                 // 000000006094: 685E5EC0
	s_nop 0                                                    // 000000006098: BF800000
	v_cndmask_b32_e64 v91, v11, v91, s[32:33]                  // 00000000609C: D100005B 0082B70B
	v_mov_b32_e32 v8, v88                                      // 0000000060A4: 7E100358
	v_max3_f32 v8, v88, v89, v8                                // 0000000060A8: D1D30008 0422B358
	v_max3_f32 v8, v90, v91, v8                                // 0000000060B0: D1D30008 0422B75A
	ds_write_b32 v5, v8 offset:21120                           // 0000000060B8: D81A5280 00000805
	s_waitcnt lgkmcnt(0)                                       // 0000000060C0: BF8CC07F
	s_barrier                                                  // 0000000060C4: BF8A0000
	ds_read_b32 v56, v4 offset:21120                           // 0000000060C8: D86C5280 38000004
	ds_read_b32 v57, v4 offset:21184                           // 0000000060D0: D86C52C0 39000004
	ds_read_b32 v58, v4 offset:21248                           // 0000000060D8: D86C5300 3A000004
	ds_read_b32 v59, v4 offset:21312                           // 0000000060E0: D86C5340 3B000004
	ds_read_b32 v60, v4 offset:21376                           // 0000000060E8: D86C5380 3C000004
	ds_read_b32 v61, v4 offset:21440                           // 0000000060F0: D86C53C0 3D000004
	ds_read_b32 v62, v4 offset:21504                           // 0000000060F8: D86C5400 3E000004
	ds_read_b32 v63, v4 offset:21568                           // 000000006100: D86C5440 3F000004
	ds_read_b32 v64, v4 offset:21632                           // 000000006108: D86C5480 40000004
	ds_read_b32 v65, v4 offset:21696                           // 000000006110: D86C54C0 41000004
	ds_read_b32 v66, v4 offset:21760                           // 000000006118: D86C5500 42000004
	ds_read_b32 v67, v4 offset:21824                           // 000000006120: D86C5540 43000004
	ds_read_b32 v68, v4 offset:21888                           // 000000006128: D86C5580 44000004
	ds_read_b32 v69, v4 offset:21952                           // 000000006130: D86C55C0 45000004
	ds_read_b32 v70, v4 offset:22016                           // 000000006138: D86C5600 46000004
	ds_read_b32 v71, v4 offset:22080                           // 000000006140: D86C5640 47000004
	s_waitcnt lgkmcnt(0)                                       // 000000006148: BF8CC07F
	v_max3_f32 v8, v56, v57, v8                                // 00000000614C: D1D30008 04227338
	v_max3_f32 v8, v58, v59, v8                                // 000000006154: D1D30008 0422773A
	v_max3_f32 v8, v60, v61, v8                                // 00000000615C: D1D30008 04227B3C
	v_max3_f32 v8, v62, v63, v8                                // 000000006164: D1D30008 04227F3E
	v_max3_f32 v8, v64, v65, v8                                // 00000000616C: D1D30008 04228340
	v_max3_f32 v8, v66, v67, v8                                // 000000006174: D1D30008 04228742
	v_max3_f32 v8, v68, v69, v8                                // 00000000617C: D1D30008 04228B44
	v_max3_f32 v8, v70, v71, v8                                // 000000006184: D1D30008 04228F46
	v_cmp_eq_u32_e64 s[32:33], v11, v12                        // 00000000618C: D0CA0020 0002190B
	v_max_f32_e32 v13, v8, v12                                 // 000000006194: 161A1908
	v_sub_f32_e32 v18, v12, v13                                // 000000006198: 04241B0C
	v_cndmask_b32_e64 v18, v18, 0, s[32:33]                    // 00000000619C: D1000012 00810112
	v_mov_b32_e32 v12, v13                                     // 0000000061A4: 7E18030D
	v_mul_f32_e32 v9, s5, v13                                  // 0000000061A8: 0A121A05
	v_mul_f32_e32 v18, s5, v18                                 // 0000000061AC: 0A242405
	v_exp_f32_e32 v18, v18                                     // 0000000061B0: 7E244112
	v_fma_f32 v88, v88, s5, -v9                                // 0000000061B4: D1CB0058 84240B58
	v_fma_f32 v89, v89, s5, -v9                                // 0000000061BC: D1CB0059 84240B59
	v_fma_f32 v90, v90, s5, -v9                                // 0000000061C4: D1CB005A 84240B5A
	v_fma_f32 v91, v91, s5, -v9                                // 0000000061CC: D1CB005B 84240B5B
	v_exp_f32_e32 v88, v88                                     // 0000000061D4: 7EB04158
	v_exp_f32_e32 v89, v89                                     // 0000000061D8: 7EB24159
	v_exp_f32_e32 v90, v90                                     // 0000000061DC: 7EB4415A
	v_exp_f32_e32 v91, v91                                     // 0000000061E0: 7EB6415B
	v_mul_f32_e32 v14, v18, v14                                // 0000000061E4: 0A1C1D12
	v_mov_b32_e32 v15, v88                                     // 0000000061E8: 7E1E0358
	v_add_f32_e32 v15, v89, v15                                // 0000000061EC: 021E1F59
	v_add_f32_e32 v15, v90, v15                                // 0000000061F0: 021E1F5A
	v_add_f32_e32 v15, v91, v15                                // 0000000061F4: 021E1F5B
	v_add_f32_e32 v14, v15, v14                                // 0000000061F8: 021C1D0F
	v_cvt_pk_fp8_f32 v88, v88, v89                             // 0000000061FC: D2A20058 0002B358
	v_cvt_pk_fp8_f32 v88, v90, v91 op_sel:[0,0,1]              // 000000006204: D2A24058 0002B75A
	ds_write_b32 v7, v88                                       // 00000000620C: D81A0000 00005807
	v_mov_b32_e32 v32, v18                                     // 000000006214: 7E400312
	v_mov_b32_e32 v33, v18                                     // 000000006218: 7E420312
	v_pk_mul_f32 v[92:93], v[32:33], v[92:93]                  // 00000000621C: D3B1405C 1802B920
	v_pk_mul_f32 v[94:95], v[32:33], v[94:95]                  // 000000006224: D3B1405E 1802BD20
	v_pk_mul_f32 v[96:97], v[32:33], v[96:97]                  // 00000000622C: D3B14060 1802C120
	v_pk_mul_f32 v[98:99], v[32:33], v[98:99]                  // 000000006234: D3B14062 1802C520
	v_pk_mul_f32 v[100:101], v[32:33], v[100:101]              // 00000000623C: D3B14064 1802C920
	v_pk_mul_f32 v[102:103], v[32:33], v[102:103]              // 000000006244: D3B14066 1802CD20
	v_pk_mul_f32 v[104:105], v[32:33], v[104:105]              // 00000000624C: D3B14068 1802D120
	v_pk_mul_f32 v[106:107], v[32:33], v[106:107]              // 000000006254: D3B1406A 1802D520
	v_pk_mul_f32 v[108:109], v[32:33], v[108:109]              // 00000000625C: D3B1406C 1802D920
	v_pk_mul_f32 v[110:111], v[32:33], v[110:111]              // 000000006264: D3B1406E 1802DD20
	v_pk_mul_f32 v[112:113], v[32:33], v[112:113]              // 00000000626C: D3B14070 1802E120
	v_pk_mul_f32 v[114:115], v[32:33], v[114:115]              // 000000006274: D3B14072 1802E520
	v_pk_mul_f32 v[116:117], v[32:33], v[116:117]              // 00000000627C: D3B14074 1802E920
	v_pk_mul_f32 v[118:119], v[32:33], v[118:119]              // 000000006284: D3B14076 1802ED20
	v_pk_mul_f32 v[120:121], v[32:33], v[120:121]              // 00000000628C: D3B14078 1802F120
	v_pk_mul_f32 v[122:123], v[32:33], v[122:123]              // 000000006294: D3B1407A 1802F520
	s_waitcnt lgkmcnt(0)                                       // 00000000629C: BF8CC07F
	s_barrier                                                  // 0000000062A0: BF8A0000
	ds_read_b64 v[88:89], v6                                   // 0000000062A4: D8EC0000 58000006
	ds_read_b64 v[90:91], v6 offset:32                         // 0000000062AC: D8EC0020 5A000006
	v_mul_u32_u24_dpp v40, v24, v10 row_newbcast:0 row_mask:0xf bank_mask:0xf// 0000000062B4: 105014FA FF015018
	v_mul_u32_u24_dpp v41, v24, v10 row_newbcast:1 row_mask:0xf bank_mask:0xf// 0000000062BC: 105214FA FF015118
	v_mul_u32_u24_dpp v42, v24, v10 row_newbcast:2 row_mask:0xf bank_mask:0xf// 0000000062C4: 105414FA FF015218
	v_mul_u32_u24_dpp v43, v24, v10 row_newbcast:3 row_mask:0xf bank_mask:0xf// 0000000062CC: 105614FA FF015318
	v_mul_u32_u24_dpp v44, v24, v10 row_newbcast:4 row_mask:0xf bank_mask:0xf// 0000000062D4: 105814FA FF015418
	v_mul_u32_u24_dpp v45, v24, v10 row_newbcast:5 row_mask:0xf bank_mask:0xf// 0000000062DC: 105A14FA FF015518
	v_mul_u32_u24_dpp v46, v24, v10 row_newbcast:6 row_mask:0xf bank_mask:0xf// 0000000062E4: 105C14FA FF015618
	v_mul_u32_u24_dpp v47, v24, v10 row_newbcast:7 row_mask:0xf bank_mask:0xf// 0000000062EC: 105E14FA FF015718
	v_mul_u32_u24_dpp v48, v24, v10 row_newbcast:8 row_mask:0xf bank_mask:0xf// 0000000062F4: 106014FA FF015818
	v_mul_u32_u24_dpp v49, v24, v10 row_newbcast:9 row_mask:0xf bank_mask:0xf// 0000000062FC: 106214FA FF015918
	v_mul_u32_u24_dpp v50, v24, v10 row_newbcast:10 row_mask:0xf bank_mask:0xf// 000000006304: 106414FA FF015A18
	v_mul_u32_u24_dpp v51, v24, v10 row_newbcast:11 row_mask:0xf bank_mask:0xf// 00000000630C: 106614FA FF015B18
	v_mul_u32_u24_dpp v52, v24, v10 row_newbcast:12 row_mask:0xf bank_mask:0xf// 000000006314: 106814FA FF015C18
	v_mul_u32_u24_dpp v53, v24, v10 row_newbcast:13 row_mask:0xf bank_mask:0xf// 00000000631C: 106A14FA FF015D18
	v_mul_u32_u24_dpp v54, v24, v10 row_newbcast:14 row_mask:0xf bank_mask:0xf// 000000006324: 106C14FA FF015E18
	v_mul_u32_u24_dpp v55, v24, v10 row_newbcast:15 row_mask:0xf bank_mask:0xf// 00000000632C: 106E14FA FF015F18
	s_mov_b32 s56, m0                                          // 000000006334: BEB8007C
	s_set_gpr_idx_on s51, gpr_idx(SRC0)                        // 000000006338: BF110133
	v_add_u32_e32 v36, v40, v3                                 // 00000000633C: 68480728
	v_add_u32_e32 v37, v41, v3                                 // 000000006340: 684A0729
	v_add_u32_e32 v38, v42, v3                                 // 000000006344: 684C072A
	v_add_u32_e32 v39, v43, v3                                 // 000000006348: 684E072B
	s_set_gpr_idx_off                                          // 00000000634C: BF9C0000
	s_mov_b32 m0, s56                                          // 000000006350: BEFC0038
	v_add_u32_e32 v40, v40, v2                                 // 000000006354: 68500528
	v_add_u32_e32 v41, v41, v2                                 // 000000006358: 68520529
	v_add_u32_e32 v42, v42, v2                                 // 00000000635C: 6854052A
	v_add_u32_e32 v43, v43, v2                                 // 000000006360: 6856052B
	v_add_u32_e32 v44, v44, v2                                 // 000000006364: 6858052C
	v_add_u32_e32 v45, v45, v2                                 // 000000006368: 685A052D
	v_add_u32_e32 v46, v46, v2                                 // 00000000636C: 685C052E
	v_add_u32_e32 v47, v47, v2                                 // 000000006370: 685E052F
	v_add_u32_e32 v48, v48, v2                                 // 000000006374: 68600530
	v_add_u32_e32 v49, v49, v2                                 // 000000006378: 68620531
	v_add_u32_e32 v50, v50, v2                                 // 00000000637C: 68640532
	v_add_u32_e32 v51, v51, v2                                 // 000000006380: 68660533
	v_add_u32_e32 v52, v52, v2                                 // 000000006384: 68680534
	v_add_u32_e32 v53, v53, v2                                 // 000000006388: 686A0535
	v_add_u32_e32 v54, v54, v2                                 // 00000000638C: 686C0536
	v_add_u32_e32 v55, v55, v2                                 // 000000006390: 686E0537
	s_waitcnt lgkmcnt(0)                                       // 000000006394: BF8CC07F
	s_waitcnt vmcnt(0)                                         // 000000006398: BF8C0F70
	s_barrier                                                  // 00000000639C: BF8A0000
	v_mfma_f32_16x16x32_fp8_fp8 v[92:95], a[108:109], v[88:89], v[92:95]// 0000000063A0: D3F3005C 0D72B16C
	v_mfma_f32_16x16x32_fp8_fp8 v[92:95], a[110:111], v[90:91], v[92:95]// 0000000063A8: D3F3005C 0D72B56E
	v_mfma_f32_16x16x32_fp8_fp8 v[96:99], a[112:113], v[88:89], v[96:99]// 0000000063B0: D3F30060 0D82B170
	v_mfma_f32_16x16x32_fp8_fp8 v[96:99], a[114:115], v[90:91], v[96:99]// 0000000063B8: D3F30060 0D82B572
	v_mfma_f32_16x16x32_fp8_fp8 v[100:103], a[116:117], v[88:89], v[100:103]// 0000000063C0: D3F30064 0D92B174
	v_mfma_f32_16x16x32_fp8_fp8 v[100:103], a[118:119], v[90:91], v[100:103]// 0000000063C8: D3F30064 0D92B576
	v_mfma_f32_16x16x32_fp8_fp8 v[104:107], a[120:121], v[88:89], v[104:107]// 0000000063D0: D3F30068 0DA2B178
	v_mfma_f32_16x16x32_fp8_fp8 v[104:107], a[122:123], v[90:91], v[104:107]// 0000000063D8: D3F30068 0DA2B57A
	v_mfma_f32_16x16x32_fp8_fp8 v[108:111], a[124:125], v[88:89], v[108:111]// 0000000063E0: D3F3006C 0DB2B17C
	v_mfma_f32_16x16x32_fp8_fp8 v[108:111], a[126:127], v[90:91], v[108:111]// 0000000063E8: D3F3006C 0DB2B57E
	v_mfma_f32_16x16x32_fp8_fp8 v[112:115], a[128:129], v[88:89], v[112:115]// 0000000063F0: D3F30070 0DC2B180
	v_mfma_f32_16x16x32_fp8_fp8 v[112:115], a[130:131], v[90:91], v[112:115]// 0000000063F8: D3F30070 0DC2B582
	v_mfma_f32_16x16x32_fp8_fp8 v[116:119], a[132:133], v[88:89], v[116:119]// 000000006400: D3F30074 0DD2B184
	v_mfma_f32_16x16x32_fp8_fp8 v[116:119], a[134:135], v[90:91], v[116:119]// 000000006408: D3F30074 0DD2B586
	v_mfma_f32_16x16x32_fp8_fp8 v[120:123], a[136:137], v[88:89], v[120:123]// 000000006410: D3F30078 0DE2B188
	v_mfma_f32_16x16x32_fp8_fp8 v[120:123], a[138:139], v[90:91], v[120:123]// 000000006418: D3F30078 0DE2B58A
	s_nop 8                                                    // 000000006420: BF800008
	s_branch label_106C                                        // 000000006424: BF820000

0000000000006428 <label_106C>:
	ds_write_b32 v5, v14 offset:21120                          // 000000006428: D81A5280 00000E05
	s_waitcnt lgkmcnt(0)                                       // 000000006430: BF8CC07F
	s_barrier                                                  // 000000006434: BF8A0000
	ds_read_b32 v56, v4 offset:21120                           // 000000006438: D86C5280 38000004
	ds_read_b32 v57, v4 offset:21184                           // 000000006440: D86C52C0 39000004
	ds_read_b32 v58, v4 offset:21248                           // 000000006448: D86C5300 3A000004
	ds_read_b32 v59, v4 offset:21312                           // 000000006450: D86C5340 3B000004
	ds_read_b32 v60, v4 offset:21376                           // 000000006458: D86C5380 3C000004
	ds_read_b32 v61, v4 offset:21440                           // 000000006460: D86C53C0 3D000004
	ds_read_b32 v62, v4 offset:21504                           // 000000006468: D86C5400 3E000004
	ds_read_b32 v63, v4 offset:21568                           // 000000006470: D86C5440 3F000004
	ds_read_b32 v64, v4 offset:21632                           // 000000006478: D86C5480 40000004
	ds_read_b32 v65, v4 offset:21696                           // 000000006480: D86C54C0 41000004
	ds_read_b32 v66, v4 offset:21760                           // 000000006488: D86C5500 42000004
	ds_read_b32 v67, v4 offset:21824                           // 000000006490: D86C5540 43000004
	ds_read_b32 v68, v4 offset:21888                           // 000000006498: D86C5580 44000004
	ds_read_b32 v69, v4 offset:21952                           // 0000000064A0: D86C55C0 45000004
	ds_read_b32 v70, v4 offset:22016                           // 0000000064A8: D86C5600 46000004
	ds_read_b32 v71, v4 offset:22080                           // 0000000064B0: D86C5640 47000004
	s_waitcnt lgkmcnt(0)                                       // 0000000064B8: BF8CC07F
	v_mov_b32_e32 v14, 0                                       // 0000000064BC: 7E1C0280
	v_add_f32_e32 v14, v56, v14                                // 0000000064C0: 021C1D38
	v_add_f32_e32 v14, v57, v14                                // 0000000064C4: 021C1D39
	v_add_f32_e32 v14, v58, v14                                // 0000000064C8: 021C1D3A
	v_add_f32_e32 v14, v59, v14                                // 0000000064CC: 021C1D3B
	v_add_f32_e32 v14, v60, v14                                // 0000000064D0: 021C1D3C
	v_add_f32_e32 v14, v61, v14                                // 0000000064D4: 021C1D3D
	v_add_f32_e32 v14, v62, v14                                // 0000000064D8: 021C1D3E
	v_add_f32_e32 v14, v63, v14                                // 0000000064DC: 021C1D3F
	v_add_f32_e32 v14, v64, v14                                // 0000000064E0: 021C1D40
	v_add_f32_e32 v14, v65, v14                                // 0000000064E4: 021C1D41
	v_add_f32_e32 v14, v66, v14                                // 0000000064E8: 021C1D42
	v_add_f32_e32 v14, v67, v14                                // 0000000064EC: 021C1D43
	v_add_f32_e32 v14, v68, v14                                // 0000000064F0: 021C1D44
	v_add_f32_e32 v14, v69, v14                                // 0000000064F4: 021C1D45
	v_add_f32_e32 v14, v70, v14                                // 0000000064F8: 021C1D46
	v_add_f32_e32 v14, v71, v14                                // 0000000064FC: 021C1D47
	v_mul_f32_e64 v32, v12, s64                                // 000000006500: D1050020 0000810C
	v_log_f32_e32 v33, v14                                     // 000000006508: 7E42430E
	s_nop 1                                                    // 00000000650C: BF800001
	v_rcp_f32_e32 v14, v14                                     // 000000006510: 7E1C450E
	s_nop 1                                                    // 000000006514: BF800001
	v_fma_f32 v42, v33, s63, v32                               // 000000006518: D1CB002A 04807F21
	v_mul_f32_e32 v92, v14, v92                                // 000000006520: 0AB8B90E
	v_mul_f32_e32 v93, v14, v93                                // 000000006524: 0ABABB0E
	v_mul_f32_e32 v94, v14, v94                                // 000000006528: 0ABCBD0E
	v_mul_f32_e32 v95, v14, v95                                // 00000000652C: 0ABEBF0E
	v_mul_f32_e32 v96, v14, v96                                // 000000006530: 0AC0C10E
	v_mul_f32_e32 v97, v14, v97                                // 000000006534: 0AC2C30E
	v_mul_f32_e32 v98, v14, v98                                // 000000006538: 0AC4C50E
	v_mul_f32_e32 v99, v14, v99                                // 00000000653C: 0AC6C70E
	v_mul_f32_e32 v100, v14, v100                              // 000000006540: 0AC8C90E
	v_mul_f32_e32 v101, v14, v101                              // 000000006544: 0ACACB0E
	v_mul_f32_e32 v102, v14, v102                              // 000000006548: 0ACCCD0E
	v_mul_f32_e32 v103, v14, v103                              // 00000000654C: 0ACECF0E
	v_mul_f32_e32 v104, v14, v104                              // 000000006550: 0AD0D10E
	v_mul_f32_e32 v105, v14, v105                              // 000000006554: 0AD2D30E
	v_mul_f32_e32 v106, v14, v106                              // 000000006558: 0AD4D50E
	v_mul_f32_e32 v107, v14, v107                              // 00000000655C: 0AD6D70E
	v_mul_f32_e32 v108, v14, v108                              // 000000006560: 0AD8D90E
	v_mul_f32_e32 v109, v14, v109                              // 000000006564: 0ADADB0E
	v_mul_f32_e32 v110, v14, v110                              // 000000006568: 0ADCDD0E
	v_mul_f32_e32 v111, v14, v111                              // 00000000656C: 0ADEDF0E
	v_mul_f32_e32 v112, v14, v112                              // 000000006570: 0AE0E10E
	v_mul_f32_e32 v113, v14, v113                              // 000000006574: 0AE2E30E
	v_mul_f32_e32 v114, v14, v114                              // 000000006578: 0AE4E50E
	v_mul_f32_e32 v115, v14, v115                              // 00000000657C: 0AE6E70E
	v_mul_f32_e32 v116, v14, v116                              // 000000006580: 0AE8E90E
	v_mul_f32_e32 v117, v14, v117                              // 000000006584: 0AEAEB0E
	v_mul_f32_e32 v118, v14, v118                              // 000000006588: 0AECED0E
	v_mul_f32_e32 v119, v14, v119                              // 00000000658C: 0AEEEF0E
	v_mul_f32_e32 v120, v14, v120                              // 000000006590: 0AF0F10E
	v_mul_f32_e32 v121, v14, v121                              // 000000006594: 0AF2F30E
	v_mul_f32_e32 v122, v14, v122                              // 000000006598: 0AF4F50E
	v_mul_f32_e32 v123, v14, v123                              // 00000000659C: 0AF6F70E
	s_mov_b32 s56, 1                                           // 0000000065A0: BEB80081
	s_cmp_eq_i32 s56, s67                                      // 0000000065A4: BF004338
	s_cbranch_scc0 label_1270                                  // 0000000065A8: BF8401A3
	s_waitcnt lgkmcnt(0)                                       // 0000000065AC: BF8CC07F
	s_barrier                                                  // 0000000065B0: BF8A0000
	v_lshlrev_b32_e32 v41, 1, v0                               // 0000000065B4: 24520081
	s_mul_i32 s56, s7, 0x410                                   // 0000000065B8: 9238FF07 00000410
	v_add_u32_e32 v41, s56, v41                                // 0000000065C0: 68525238
	v_lshlrev_b32_e32 v41, 2, v41                              // 0000000065C4: 24525282
	v_mov_b32_e32 v56, v92                                     // 0000000065C8: 7E70035C
	v_mov_b32_e32 v57, v96                                     // 0000000065CC: 7E720360
	v_mov_b32_e32 v58, v100                                    // 0000000065D0: 7E740364
	v_mov_b32_e32 v59, v104                                    // 0000000065D4: 7E760368
	v_mul_f32_e32 v56, s41, v56                                // 0000000065D8: 0A707029
	v_mul_f32_e32 v57, s41, v57                                // 0000000065DC: 0A727229
	v_mul_f32_e32 v58, s41, v58                                // 0000000065E0: 0A747429
	v_mul_f32_e32 v59, s41, v59                                // 0000000065E4: 0A767629
	v_cmp_u_f32_e64 s[32:33], v56, v56                         // 0000000065E8: D0480020 00027138
	v_add3_u32 v28, v56, v31, 1                                // 0000000065F0: D1FF001C 02063F38
	v_cndmask_b32_e64 v32, v28, v30, s[32:33]                  // 0000000065F8: D1000020 00823D1C
	v_cmp_u_f32_e64 s[32:33], v57, v57                         // 000000006600: D0480020 00027339
	v_add3_u32 v28, v57, v31, 1                                // 000000006608: D1FF001C 02063F39
	v_cndmask_b32_e64 v33, v28, v30, s[32:33]                  // 000000006610: D1000021 00823D1C
	v_perm_b32 v56, v33, v32, s52                              // 000000006618: D1ED0038 00D24121
	v_cmp_u_f32_e64 s[32:33], v58, v58                         // 000000006620: D0480020 0002753A
	v_add3_u32 v28, v58, v31, 1                                // 000000006628: D1FF001C 02063F3A
	v_cndmask_b32_e64 v32, v28, v30, s[32:33]                  // 000000006630: D1000020 00823D1C
	v_cmp_u_f32_e64 s[32:33], v59, v59                         // 000000006638: D0480020 0002773B
	v_add3_u32 v28, v59, v31, 1                                // 000000006640: D1FF001C 02063F3B
	v_cndmask_b32_e64 v33, v28, v30, s[32:33]                  // 000000006648: D1000021 00823D1C
	v_perm_b32 v57, v33, v32, s52                              // 000000006650: D1ED0039 00D24121
	ds_write_b64 v41, v[56:57]                                 // 000000006658: D89A0000 00003829
	v_mov_b32_e32 v56, v93                                     // 000000006660: 7E70035D
	v_mov_b32_e32 v57, v97                                     // 000000006664: 7E720361
	v_mov_b32_e32 v58, v101                                    // 000000006668: 7E740365
	v_mov_b32_e32 v59, v105                                    // 00000000666C: 7E760369
	v_mul_f32_e32 v56, s41, v56                                // 000000006670: 0A707029
	v_mul_f32_e32 v57, s41, v57                                // 000000006674: 0A727229
	v_mul_f32_e32 v58, s41, v58                                // 000000006678: 0A747429
	v_mul_f32_e32 v59, s41, v59                                // 00000000667C: 0A767629
	v_cmp_u_f32_e64 s[32:33], v56, v56                         // 000000006680: D0480020 00027138
	v_add3_u32 v28, v56, v31, 1                                // 000000006688: D1FF001C 02063F38
	v_cndmask_b32_e64 v32, v28, v30, s[32:33]                  // 000000006690: D1000020 00823D1C
	v_cmp_u_f32_e64 s[32:33], v57, v57                         // 000000006698: D0480020 00027339
	v_add3_u32 v28, v57, v31, 1                                // 0000000066A0: D1FF001C 02063F39
	v_cndmask_b32_e64 v33, v28, v30, s[32:33]                  // 0000000066A8: D1000021 00823D1C
	v_perm_b32 v56, v33, v32, s52                              // 0000000066B0: D1ED0038 00D24121
	v_cmp_u_f32_e64 s[32:33], v58, v58                         // 0000000066B8: D0480020 0002753A
	v_add3_u32 v28, v58, v31, 1                                // 0000000066C0: D1FF001C 02063F3A
	v_cndmask_b32_e64 v32, v28, v30, s[32:33]                  // 0000000066C8: D1000020 00823D1C
	v_cmp_u_f32_e64 s[32:33], v59, v59                         // 0000000066D0: D0480020 0002773B
	v_add3_u32 v28, v59, v31, 1                                // 0000000066D8: D1FF001C 02063F3B
	v_cndmask_b32_e64 v33, v28, v30, s[32:33]                  // 0000000066E0: D1000021 00823D1C
	v_perm_b32 v57, v33, v32, s52                              // 0000000066E8: D1ED0039 00D24121
	ds_write_b64 v41, v[56:57] offset:520                      // 0000000066F0: D89A0208 00003829
	v_mov_b32_e32 v56, v94                                     // 0000000066F8: 7E70035E
	v_mov_b32_e32 v57, v98                                     // 0000000066FC: 7E720362
	v_mov_b32_e32 v58, v102                                    // 000000006700: 7E740366
	v_mov_b32_e32 v59, v106                                    // 000000006704: 7E76036A
	v_mul_f32_e32 v56, s41, v56                                // 000000006708: 0A707029
	v_mul_f32_e32 v57, s41, v57                                // 00000000670C: 0A727229
	v_mul_f32_e32 v58, s41, v58                                // 000000006710: 0A747429
	v_mul_f32_e32 v59, s41, v59                                // 000000006714: 0A767629
	v_cmp_u_f32_e64 s[32:33], v56, v56                         // 000000006718: D0480020 00027138
	v_add3_u32 v28, v56, v31, 1                                // 000000006720: D1FF001C 02063F38
	v_cndmask_b32_e64 v32, v28, v30, s[32:33]                  // 000000006728: D1000020 00823D1C
	v_cmp_u_f32_e64 s[32:33], v57, v57                         // 000000006730: D0480020 00027339
	v_add3_u32 v28, v57, v31, 1                                // 000000006738: D1FF001C 02063F39
	v_cndmask_b32_e64 v33, v28, v30, s[32:33]                  // 000000006740: D1000021 00823D1C
	v_perm_b32 v56, v33, v32, s52                              // 000000006748: D1ED0038 00D24121
	v_cmp_u_f32_e64 s[32:33], v58, v58                         // 000000006750: D0480020 0002753A
	v_add3_u32 v28, v58, v31, 1                                // 000000006758: D1FF001C 02063F3A
	v_cndmask_b32_e64 v32, v28, v30, s[32:33]                  // 000000006760: D1000020 00823D1C
	v_cmp_u_f32_e64 s[32:33], v59, v59                         // 000000006768: D0480020 0002773B
	v_add3_u32 v28, v59, v31, 1                                // 000000006770: D1FF001C 02063F3B
	v_cndmask_b32_e64 v33, v28, v30, s[32:33]                  // 000000006778: D1000021 00823D1C
	v_perm_b32 v57, v33, v32, s52                              // 000000006780: D1ED0039 00D24121
	ds_write_b64 v41, v[56:57] offset:1040                     // 000000006788: D89A0410 00003829
	v_mov_b32_e32 v56, v95                                     // 000000006790: 7E70035F
	v_mov_b32_e32 v57, v99                                     // 000000006794: 7E720363
	v_mov_b32_e32 v58, v103                                    // 000000006798: 7E740367
	v_mov_b32_e32 v59, v107                                    // 00000000679C: 7E76036B
	v_mul_f32_e32 v56, s41, v56                                // 0000000067A0: 0A707029
	v_mul_f32_e32 v57, s41, v57                                // 0000000067A4: 0A727229
	v_mul_f32_e32 v58, s41, v58                                // 0000000067A8: 0A747429
	v_mul_f32_e32 v59, s41, v59                                // 0000000067AC: 0A767629
	v_cmp_u_f32_e64 s[32:33], v56, v56                         // 0000000067B0: D0480020 00027138
	v_add3_u32 v28, v56, v31, 1                                // 0000000067B8: D1FF001C 02063F38
	v_cndmask_b32_e64 v32, v28, v30, s[32:33]                  // 0000000067C0: D1000020 00823D1C
	v_cmp_u_f32_e64 s[32:33], v57, v57                         // 0000000067C8: D0480020 00027339
	v_add3_u32 v28, v57, v31, 1                                // 0000000067D0: D1FF001C 02063F39
	v_cndmask_b32_e64 v33, v28, v30, s[32:33]                  // 0000000067D8: D1000021 00823D1C
	v_perm_b32 v56, v33, v32, s52                              // 0000000067E0: D1ED0038 00D24121
	v_cmp_u_f32_e64 s[32:33], v58, v58                         // 0000000067E8: D0480020 0002753A
	v_add3_u32 v28, v58, v31, 1                                // 0000000067F0: D1FF001C 02063F3A
	v_cndmask_b32_e64 v32, v28, v30, s[32:33]                  // 0000000067F8: D1000020 00823D1C
	v_cmp_u_f32_e64 s[32:33], v59, v59                         // 000000006800: D0480020 0002773B
	v_add3_u32 v28, v59, v31, 1                                // 000000006808: D1FF001C 02063F3B
	v_cndmask_b32_e64 v33, v28, v30, s[32:33]                  // 000000006810: D1000021 00823D1C
	v_perm_b32 v57, v33, v32, s52                              // 000000006818: D1ED0039 00D24121
	ds_write_b64 v41, v[56:57] offset:1560                     // 000000006820: D89A0618 00003829
	v_mov_b32_e32 v56, v108                                    // 000000006828: 7E70036C
	v_mov_b32_e32 v57, v112                                    // 00000000682C: 7E720370
	v_mov_b32_e32 v58, v116                                    // 000000006830: 7E740374
	v_mov_b32_e32 v59, v120                                    // 000000006834: 7E760378
	v_mul_f32_e32 v56, s41, v56                                // 000000006838: 0A707029
	v_mul_f32_e32 v57, s41, v57                                // 00000000683C: 0A727229
	v_mul_f32_e32 v58, s41, v58                                // 000000006840: 0A747429
	v_mul_f32_e32 v59, s41, v59                                // 000000006844: 0A767629
	v_cmp_u_f32_e64 s[32:33], v56, v56                         // 000000006848: D0480020 00027138
	v_add3_u32 v28, v56, v31, 1                                // 000000006850: D1FF001C 02063F38
	v_cndmask_b32_e64 v32, v28, v30, s[32:33]                  // 000000006858: D1000020 00823D1C
	v_cmp_u_f32_e64 s[32:33], v57, v57                         // 000000006860: D0480020 00027339
	v_add3_u32 v28, v57, v31, 1                                // 000000006868: D1FF001C 02063F39
	v_cndmask_b32_e64 v33, v28, v30, s[32:33]                  // 000000006870: D1000021 00823D1C
	v_perm_b32 v56, v33, v32, s52                              // 000000006878: D1ED0038 00D24121
	v_cmp_u_f32_e64 s[32:33], v58, v58                         // 000000006880: D0480020 0002753A
	v_add3_u32 v28, v58, v31, 1                                // 000000006888: D1FF001C 02063F3A
	v_cndmask_b32_e64 v32, v28, v30, s[32:33]                  // 000000006890: D1000020 00823D1C
	v_cmp_u_f32_e64 s[32:33], v59, v59                         // 000000006898: D0480020 0002773B
	v_add3_u32 v28, v59, v31, 1                                // 0000000068A0: D1FF001C 02063F3B
	v_cndmask_b32_e64 v33, v28, v30, s[32:33]                  // 0000000068A8: D1000021 00823D1C
	v_perm_b32 v57, v33, v32, s52                              // 0000000068B0: D1ED0039 00D24121
	ds_write_b64 v41, v[56:57] offset:2080                     // 0000000068B8: D89A0820 00003829
	v_mov_b32_e32 v56, v109                                    // 0000000068C0: 7E70036D
	v_mov_b32_e32 v57, v113                                    // 0000000068C4: 7E720371
	v_mov_b32_e32 v58, v117                                    // 0000000068C8: 7E740375
	v_mov_b32_e32 v59, v121                                    // 0000000068CC: 7E760379
	v_mul_f32_e32 v56, s41, v56                                // 0000000068D0: 0A707029
	v_mul_f32_e32 v57, s41, v57                                // 0000000068D4: 0A727229
	v_mul_f32_e32 v58, s41, v58                                // 0000000068D8: 0A747429
	v_mul_f32_e32 v59, s41, v59                                // 0000000068DC: 0A767629
	v_cmp_u_f32_e64 s[32:33], v56, v56                         // 0000000068E0: D0480020 00027138
	v_add3_u32 v28, v56, v31, 1                                // 0000000068E8: D1FF001C 02063F38
	v_cndmask_b32_e64 v32, v28, v30, s[32:33]                  // 0000000068F0: D1000020 00823D1C
	v_cmp_u_f32_e64 s[32:33], v57, v57                         // 0000000068F8: D0480020 00027339
	v_add3_u32 v28, v57, v31, 1                                // 000000006900: D1FF001C 02063F39
	v_cndmask_b32_e64 v33, v28, v30, s[32:33]                  // 000000006908: D1000021 00823D1C
	v_perm_b32 v56, v33, v32, s52                              // 000000006910: D1ED0038 00D24121
	v_cmp_u_f32_e64 s[32:33], v58, v58                         // 000000006918: D0480020 0002753A
	v_add3_u32 v28, v58, v31, 1                                // 000000006920: D1FF001C 02063F3A
	v_cndmask_b32_e64 v32, v28, v30, s[32:33]                  // 000000006928: D1000020 00823D1C
	v_cmp_u_f32_e64 s[32:33], v59, v59                         // 000000006930: D0480020 0002773B
	v_add3_u32 v28, v59, v31, 1                                // 000000006938: D1FF001C 02063F3B
	v_cndmask_b32_e64 v33, v28, v30, s[32:33]                  // 000000006940: D1000021 00823D1C
	v_perm_b32 v57, v33, v32, s52                              // 000000006948: D1ED0039 00D24121
	ds_write_b64 v41, v[56:57] offset:2600                     // 000000006950: D89A0A28 00003829
	v_mov_b32_e32 v56, v110                                    // 000000006958: 7E70036E
	v_mov_b32_e32 v57, v114                                    // 00000000695C: 7E720372
	v_mov_b32_e32 v58, v118                                    // 000000006960: 7E740376
	v_mov_b32_e32 v59, v122                                    // 000000006964: 7E76037A
	v_mul_f32_e32 v56, s41, v56                                // 000000006968: 0A707029
	v_mul_f32_e32 v57, s41, v57                                // 00000000696C: 0A727229
	v_mul_f32_e32 v58, s41, v58                                // 000000006970: 0A747429
	v_mul_f32_e32 v59, s41, v59                                // 000000006974: 0A767629
	v_cmp_u_f32_e64 s[32:33], v56, v56                         // 000000006978: D0480020 00027138
	v_add3_u32 v28, v56, v31, 1                                // 000000006980: D1FF001C 02063F38
	v_cndmask_b32_e64 v32, v28, v30, s[32:33]                  // 000000006988: D1000020 00823D1C
	v_cmp_u_f32_e64 s[32:33], v57, v57                         // 000000006990: D0480020 00027339
	v_add3_u32 v28, v57, v31, 1                                // 000000006998: D1FF001C 02063F39
	v_cndmask_b32_e64 v33, v28, v30, s[32:33]                  // 0000000069A0: D1000021 00823D1C
	v_perm_b32 v56, v33, v32, s52                              // 0000000069A8: D1ED0038 00D24121
	v_cmp_u_f32_e64 s[32:33], v58, v58                         // 0000000069B0: D0480020 0002753A
	v_add3_u32 v28, v58, v31, 1                                // 0000000069B8: D1FF001C 02063F3A
	v_cndmask_b32_e64 v32, v28, v30, s[32:33]                  // 0000000069C0: D1000020 00823D1C
	v_cmp_u_f32_e64 s[32:33], v59, v59                         // 0000000069C8: D0480020 0002773B
	v_add3_u32 v28, v59, v31, 1                                // 0000000069D0: D1FF001C 02063F3B
	v_cndmask_b32_e64 v33, v28, v30, s[32:33]                  // 0000000069D8: D1000021 00823D1C
	v_perm_b32 v57, v33, v32, s52                              // 0000000069E0: D1ED0039 00D24121
	ds_write_b64 v41, v[56:57] offset:3120                     // 0000000069E8: D89A0C30 00003829
	v_mov_b32_e32 v56, v111                                    // 0000000069F0: 7E70036F
	v_mov_b32_e32 v57, v115                                    // 0000000069F4: 7E720373
	v_mov_b32_e32 v58, v119                                    // 0000000069F8: 7E740377
	v_mov_b32_e32 v59, v123                                    // 0000000069FC: 7E76037B
	v_mul_f32_e32 v56, s41, v56                                // 000000006A00: 0A707029
	v_mul_f32_e32 v57, s41, v57                                // 000000006A04: 0A727229
	v_mul_f32_e32 v58, s41, v58                                // 000000006A08: 0A747429
	v_mul_f32_e32 v59, s41, v59                                // 000000006A0C: 0A767629
	v_cmp_u_f32_e64 s[32:33], v56, v56                         // 000000006A10: D0480020 00027138
	v_add3_u32 v28, v56, v31, 1                                // 000000006A18: D1FF001C 02063F38
	v_cndmask_b32_e64 v32, v28, v30, s[32:33]                  // 000000006A20: D1000020 00823D1C
	v_cmp_u_f32_e64 s[32:33], v57, v57                         // 000000006A28: D0480020 00027339
	v_add3_u32 v28, v57, v31, 1                                // 000000006A30: D1FF001C 02063F39
	v_cndmask_b32_e64 v33, v28, v30, s[32:33]                  // 000000006A38: D1000021 00823D1C
	v_perm_b32 v56, v33, v32, s52                              // 000000006A40: D1ED0038 00D24121
	v_cmp_u_f32_e64 s[32:33], v58, v58                         // 000000006A48: D0480020 0002753A
	v_add3_u32 v28, v58, v31, 1                                // 000000006A50: D1FF001C 02063F3A
	v_cndmask_b32_e64 v32, v28, v30, s[32:33]                  // 000000006A58: D1000020 00823D1C
	v_cmp_u_f32_e64 s[32:33], v59, v59                         // 000000006A60: D0480020 0002773B
	v_add3_u32 v28, v59, v31, 1                                // 000000006A68: D1FF001C 02063F3B
	v_cndmask_b32_e64 v33, v28, v30, s[32:33]                  // 000000006A70: D1000021 00823D1C
	v_perm_b32 v57, v33, v32, s52                              // 000000006A78: D1ED0039 00D24121
	ds_write_b64 v41, v[56:57] offset:3640                     // 000000006A80: D89A0E38 00003829
	v_mov_b32_e32 v32, 0                                       // 000000006A88: 7E400280
	v_mov_b32_e32 v33, 4                                       // 000000006A8C: 7E420284
	s_mov_b32 s56, 0xffff0000                                  // 000000006A90: BEB800FF FFFF0000
	s_mov_b32 s57, 0xffff0000                                  // 000000006A98: BEB900FF FFFF0000
	v_cndmask_b32_e64 v34, v32, v33, s[56:57]                  // 000000006AA0: D1000022 00E24320
	v_and_b32_e32 v32, 3, v0                                   // 000000006AA8: 26400083
	v_add_u32_e32 v32, v32, v34                                // 000000006AAC: 68404520
	s_mov_b32 s56, 0x82                                        // 000000006AB0: BEB800FF 00000082
	v_mul_i32_i24_e32 v32, s56, v32                            // 000000006AB8: 0C404038
	v_and_b32_e32 v33, 15, v0                                  // 000000006ABC: 2642008F
	v_lshrrev_b32_e32 v33, 2, v33                              // 000000006AC0: 20424282
	s_mov_b32 s56, 32                                          // 000000006AC4: BEB800A0
	v_mul_i32_i24_e32 v33, s56, v33                            // 000000006AC8: 0C424238
	v_lshrrev_b32_e32 v34, 5, v0                               // 000000006ACC: 20440085
	v_lshlrev_b32_e32 v34, 1, v34                              // 000000006AD0: 24444481
	v_add_u32_e32 v41, v32, v33                                // 000000006AD4: 68524320
	v_add_u32_e32 v41, v41, v34                                // 000000006AD8: 68524529
	s_mul_i32 s56, s7, 0x410                                   // 000000006ADC: 9238FF07 00000410
	v_add_u32_e32 v41, s56, v41                                // 000000006AE4: 68525238
	v_lshlrev_b32_e32 v41, 2, v41                              // 000000006AE8: 24525282
	s_waitcnt lgkmcnt(0)                                       // 000000006AEC: BF8CC07F
	ds_read_b64 v[92:93], v41                                  // 000000006AF0: D8EC0000 5C000029
	ds_read_b64 v[94:95], v41 offset:16                        // 000000006AF8: D8EC0010 5E000029
	ds_read_b64 v[96:97], v41 offset:32                        // 000000006B00: D8EC0020 60000029
	ds_read_b64 v[98:99], v41 offset:48                        // 000000006B08: D8EC0030 62000029
	ds_read_b64 v[100:101], v41 offset:64                      // 000000006B10: D8EC0040 64000029
	ds_read_b64 v[102:103], v41 offset:80                      // 000000006B18: D8EC0050 66000029
	ds_read_b64 v[104:105], v41 offset:96                      // 000000006B20: D8EC0060 68000029
	ds_read_b64 v[106:107], v41 offset:112                     // 000000006B28: D8EC0070 6A000029
	s_mul_i32 s75, 0x400, s65                                  // 000000006B30: 924B41FF 00000400
	s_mov_b32 s10, s75                                         // 000000006B38: BE8A004B
	s_mul_i32 s56, s67, s75                                    // 000000006B3C: 92384B43
	s_mul_i32 s56, s3, s56                                     // 000000006B40: 92383803
	s_mul_i32 s57, s4, s75                                     // 000000006B44: 92394B04
	s_add_u32 s56, s57, s56                                    // 000000006B48: 80383839
	s_add_u32 s8, s56, s8                                      // 000000006B4C: 80080838
	s_addc_u32 s9, 0, s9                                       // 000000006B50: 82090980
	s_mul_i32 s56, s7, 0x100                                   // 000000006B54: 9238FF07 00000100
	v_lshrrev_b32_e32 v32, 5, v0                               // 000000006B5C: 20400085
	s_mov_b32 s57, 0x400                                       // 000000006B60: BEB900FF 00000400
	v_mul_i32_i24_e32 v32, s57, v32                            // 000000006B68: 0C404039
	v_and_b32_e32 v17, 31, v0                                  // 000000006B6C: 2622009F
	v_lshlrev_b32_e32 v17, 3, v17                              // 000000006B70: 24222283
	v_add_u32_e32 v17, v17, v32                                // 000000006B74: 68224111
	v_add_u32_e64 v17, v17, s56                                // 000000006B78: D1340011 00007111
	s_mul_i32 s56, 0x400, s76                                  // 000000006B80: 92384CFF 00000400
	s_mul_i32 s56, s2, s56                                     // 000000006B88: 92383802
	v_add_u32_e64 v17, v17, s56                                // 000000006B8C: D1340011 00007111
	s_waitcnt lgkmcnt(7)                                       // 000000006B94: BF8CC77F
	buffer_store_dwordx2 v[92:93], v17, s[8:11], 0 offen       // 000000006B98: E0741000 80025C11
	v_add_u32_e32 v17, 0x800, v17                              // 000000006BA0: 682222FF 00000800
	s_waitcnt lgkmcnt(6)                                       // 000000006BA8: BF8CC67F
	buffer_store_dwordx2 v[94:95], v17, s[8:11], 0 offen       // 000000006BAC: E0741000 80025E11
	v_add_u32_e32 v17, 0x800, v17                              // 000000006BB4: 682222FF 00000800
	s_waitcnt lgkmcnt(5)                                       // 000000006BBC: BF8CC57F
	buffer_store_dwordx2 v[96:97], v17, s[8:11], 0 offen       // 000000006BC0: E0741000 80026011
	v_add_u32_e32 v17, 0x800, v17                              // 000000006BC8: 682222FF 00000800
	s_waitcnt lgkmcnt(4)                                       // 000000006BD0: BF8CC47F
	buffer_store_dwordx2 v[98:99], v17, s[8:11], 0 offen       // 000000006BD4: E0741000 80026211
	v_add_u32_e32 v17, 0x800, v17                              // 000000006BDC: 682222FF 00000800
	s_waitcnt lgkmcnt(3)                                       // 000000006BE4: BF8CC37F
	buffer_store_dwordx2 v[100:101], v17, s[8:11], 0 offen     // 000000006BE8: E0741000 80026411
	v_add_u32_e32 v17, 0x800, v17                              // 000000006BF0: 682222FF 00000800
	s_waitcnt lgkmcnt(2)                                       // 000000006BF8: BF8CC27F
	buffer_store_dwordx2 v[102:103], v17, s[8:11], 0 offen     // 000000006BFC: E0741000 80026611
	v_add_u32_e32 v17, 0x800, v17                              // 000000006C04: 682222FF 00000800
	s_waitcnt lgkmcnt(1)                                       // 000000006C0C: BF8CC17F
	buffer_store_dwordx2 v[104:105], v17, s[8:11], 0 offen     // 000000006C10: E0741000 80026811
	v_add_u32_e32 v17, 0x800, v17                              // 000000006C18: 682222FF 00000800
	s_waitcnt lgkmcnt(0)                                       // 000000006C20: BF8CC07F
	buffer_store_dwordx2 v[106:107], v17, s[8:11], 0 offen     // 000000006C24: E0741000 80026A11
	v_add_u32_e32 v17, 0x800, v17                              // 000000006C2C: 682222FF 00000800
	s_branch label_1334                                        // 000000006C34: BF8200C4

0000000000006c38 <label_1270>:
	s_waitcnt lgkmcnt(0)                                       // 000000006C38: BF8CC07F
	s_barrier                                                  // 000000006C3C: BF8A0000
	v_lshlrev_b32_e32 v41, 2, v0                               // 000000006C40: 24520082
	s_mul_i32 s56, s7, 0x820                                   // 000000006C44: 9238FF07 00000820
	v_add_u32_e32 v41, s56, v41                                // 000000006C4C: 68525238
	v_lshlrev_b32_e32 v41, 2, v41                              // 000000006C50: 24525282
	v_mov_b32_e32 v32, v92                                     // 000000006C54: 7E40035C
	v_mov_b32_e32 v33, v96                                     // 000000006C58: 7E420360
	v_mov_b32_e32 v34, v100                                    // 000000006C5C: 7E440364
	v_mov_b32_e32 v35, v104                                    // 000000006C60: 7E460368
	v_mul_f32_e32 v32, s41, v32                                // 000000006C64: 0A404029
	v_mul_f32_e32 v33, s41, v33                                // 000000006C68: 0A424229
	v_mul_f32_e32 v34, s41, v34                                // 000000006C6C: 0A444429
	v_mul_f32_e32 v35, s41, v35                                // 000000006C70: 0A464629
	ds_write_b128 v41, v[32:35]                                // 000000006C74: D9BE0000 00002029
	v_mov_b32_e32 v32, v93                                     // 000000006C7C: 7E40035D
	v_mov_b32_e32 v33, v97                                     // 000000006C80: 7E420361
	v_mov_b32_e32 v34, v101                                    // 000000006C84: 7E440365
	v_mov_b32_e32 v35, v105                                    // 000000006C88: 7E460369
	v_mul_f32_e32 v32, s41, v32                                // 000000006C8C: 0A404029
	v_mul_f32_e32 v33, s41, v33                                // 000000006C90: 0A424229
	v_mul_f32_e32 v34, s41, v34                                // 000000006C94: 0A444429
	v_mul_f32_e32 v35, s41, v35                                // 000000006C98: 0A464629
	ds_write_b128 v41, v[32:35] offset:1040                    // 000000006C9C: D9BE0410 00002029
	v_mov_b32_e32 v32, v94                                     // 000000006CA4: 7E40035E
	v_mov_b32_e32 v33, v98                                     // 000000006CA8: 7E420362
	v_mov_b32_e32 v34, v102                                    // 000000006CAC: 7E440366
	v_mov_b32_e32 v35, v106                                    // 000000006CB0: 7E46036A
	v_mul_f32_e32 v32, s41, v32                                // 000000006CB4: 0A404029
	v_mul_f32_e32 v33, s41, v33                                // 000000006CB8: 0A424229
	v_mul_f32_e32 v34, s41, v34                                // 000000006CBC: 0A444429
	v_mul_f32_e32 v35, s41, v35                                // 000000006CC0: 0A464629
	ds_write_b128 v41, v[32:35] offset:2080                    // 000000006CC4: D9BE0820 00002029
	v_mov_b32_e32 v32, v95                                     // 000000006CCC: 7E40035F
	v_mov_b32_e32 v33, v99                                     // 000000006CD0: 7E420363
	v_mov_b32_e32 v34, v103                                    // 000000006CD4: 7E440367
	v_mov_b32_e32 v35, v107                                    // 000000006CD8: 7E46036B
	v_mul_f32_e32 v32, s41, v32                                // 000000006CDC: 0A404029
	v_mul_f32_e32 v33, s41, v33                                // 000000006CE0: 0A424229
	v_mul_f32_e32 v34, s41, v34                                // 000000006CE4: 0A444429
	v_mul_f32_e32 v35, s41, v35                                // 000000006CE8: 0A464629
	ds_write_b128 v41, v[32:35] offset:3120                    // 000000006CEC: D9BE0C30 00002029
	v_mov_b32_e32 v32, v108                                    // 000000006CF4: 7E40036C
	v_mov_b32_e32 v33, v112                                    // 000000006CF8: 7E420370
	v_mov_b32_e32 v34, v116                                    // 000000006CFC: 7E440374
	v_mov_b32_e32 v35, v120                                    // 000000006D00: 7E460378
	v_mul_f32_e32 v32, s41, v32                                // 000000006D04: 0A404029
	v_mul_f32_e32 v33, s41, v33                                // 000000006D08: 0A424229
	v_mul_f32_e32 v34, s41, v34                                // 000000006D0C: 0A444429
	v_mul_f32_e32 v35, s41, v35                                // 000000006D10: 0A464629
	ds_write_b128 v41, v[32:35] offset:4160                    // 000000006D14: D9BE1040 00002029
	v_mov_b32_e32 v32, v109                                    // 000000006D1C: 7E40036D
	v_mov_b32_e32 v33, v113                                    // 000000006D20: 7E420371
	v_mov_b32_e32 v34, v117                                    // 000000006D24: 7E440375
	v_mov_b32_e32 v35, v121                                    // 000000006D28: 7E460379
	v_mul_f32_e32 v32, s41, v32                                // 000000006D2C: 0A404029
	v_mul_f32_e32 v33, s41, v33                                // 000000006D30: 0A424229
	v_mul_f32_e32 v34, s41, v34                                // 000000006D34: 0A444429
	v_mul_f32_e32 v35, s41, v35                                // 000000006D38: 0A464629
	ds_write_b128 v41, v[32:35] offset:5200                    // 000000006D3C: D9BE1450 00002029
	v_mov_b32_e32 v32, v110                                    // 000000006D44: 7E40036E
	v_mov_b32_e32 v33, v114                                    // 000000006D48: 7E420372
	v_mov_b32_e32 v34, v118                                    // 000000006D4C: 7E440376
	v_mov_b32_e32 v35, v122                                    // 000000006D50: 7E46037A
	v_mul_f32_e32 v32, s41, v32                                // 000000006D54: 0A404029
	v_mul_f32_e32 v33, s41, v33                                // 000000006D58: 0A424229
	v_mul_f32_e32 v34, s41, v34                                // 000000006D5C: 0A444429
	v_mul_f32_e32 v35, s41, v35                                // 000000006D60: 0A464629
	ds_write_b128 v41, v[32:35] offset:6240                    // 000000006D64: D9BE1860 00002029
	v_mov_b32_e32 v32, v111                                    // 000000006D6C: 7E40036F
	v_mov_b32_e32 v33, v115                                    // 000000006D70: 7E420373
	v_mov_b32_e32 v34, v119                                    // 000000006D74: 7E440377
	v_mov_b32_e32 v35, v123                                    // 000000006D78: 7E46037B
	v_mul_f32_e32 v32, s41, v32                                // 000000006D7C: 0A404029
	v_mul_f32_e32 v33, s41, v33                                // 000000006D80: 0A424229
	v_mul_f32_e32 v34, s41, v34                                // 000000006D84: 0A444429
	v_mul_f32_e32 v35, s41, v35                                // 000000006D88: 0A464629
	ds_write_b128 v41, v[32:35] offset:7280                    // 000000006D8C: D9BE1C70 00002029
	v_mov_b32_e32 v32, 0                                       // 000000006D94: 7E400280
	v_mov_b32_e32 v33, 4                                       // 000000006D98: 7E420284
	s_mov_b32 s56, 0xffff0000                                  // 000000006D9C: BEB800FF FFFF0000
	s_mov_b32 s57, 0xffff0000                                  // 000000006DA4: BEB900FF FFFF0000
	v_cndmask_b32_e64 v34, v32, v33, s[56:57]                  // 000000006DAC: D1000022 00E24320
	v_and_b32_e32 v32, 3, v0                                   // 000000006DB4: 26400083
	v_add_u32_e32 v32, v32, v34                                // 000000006DB8: 68404520
	s_mov_b32 s56, 0x104                                       // 000000006DBC: BEB800FF 00000104
	v_mul_i32_i24_e32 v32, s56, v32                            // 000000006DC4: 0C404038
	v_and_b32_e32 v33, 15, v0                                  // 000000006DC8: 2642008F
	v_lshrrev_b32_e32 v33, 2, v33                              // 000000006DCC: 20424282
	s_mov_b32 s56, 64                                          // 000000006DD0: BEB800C0
	v_mul_i32_i24_e32 v33, s56, v33                            // 000000006DD4: 0C424238
	v_lshrrev_b32_e32 v34, 5, v0                               // 000000006DD8: 20440085
	v_lshlrev_b32_e32 v34, 2, v34                              // 000000006DDC: 24444482
	v_add_u32_e32 v41, v32, v33                                // 000000006DE0: 68524320
	v_add_u32_e32 v41, v41, v34                                // 000000006DE4: 68524529
	s_mul_i32 s56, s7, 0x820                                   // 000000006DE8: 9238FF07 00000820
	v_add_u32_e32 v41, s56, v41                                // 000000006DF0: 68525238
	v_lshlrev_b32_e32 v41, 2, v41                              // 000000006DF4: 24525282
	s_waitcnt lgkmcnt(0)                                       // 000000006DF8: BF8CC07F
	ds_read_b128 v[92:95], v41                                 // 000000006DFC: D9FE0000 5C000029
	ds_read_b128 v[96:99], v41 offset:32                       // 000000006E04: D9FE0020 60000029
	ds_read_b128 v[100:103], v41 offset:64                     // 000000006E0C: D9FE0040 64000029
	ds_read_b128 v[104:107], v41 offset:96                     // 000000006E14: D9FE0060 68000029
	ds_read_b128 v[108:111], v41 offset:128                    // 000000006E1C: D9FE0080 6C000029
	ds_read_b128 v[112:115], v41 offset:160                    // 000000006E24: D9FE00A0 70000029
	ds_read_b128 v[116:119], v41 offset:192                    // 000000006E2C: D9FE00C0 74000029
	ds_read_b128 v[120:123], v41 offset:224                    // 000000006E34: D9FE00E0 78000029
	s_mul_i32 s75, 0x800, s65                                  // 000000006E3C: 924B41FF 00000800
	s_mov_b32 s10, s75                                         // 000000006E44: BE8A004B
	s_mul_i32 s56, s67, s75                                    // 000000006E48: 92384B43
	s_mul_i32 s56, s3, s56                                     // 000000006E4C: 92383803
	s_mul_i32 s57, s4, s75                                     // 000000006E50: 92394B04
	s_add_u32 s56, s57, s56                                    // 000000006E54: 80383839
	s_add_u32 s8, s56, s8                                      // 000000006E58: 80080838
	s_addc_u32 s9, 0, s9                                       // 000000006E5C: 82090980
	s_mul_i32 s56, s7, 0x200                                   // 000000006E60: 9238FF07 00000200
	v_lshrrev_b32_e32 v32, 5, v0                               // 000000006E68: 20400085
	s_mov_b32 s57, 0x800                                       // 000000006E6C: BEB900FF 00000800
	v_mul_i32_i24_e32 v32, s57, v32                            // 000000006E74: 0C404039
	v_and_b32_e32 v17, 31, v0                                  // 000000006E78: 2622009F
	v_lshlrev_b32_e32 v17, 4, v17                              // 000000006E7C: 24222284
	v_add_u32_e32 v17, v17, v32                                // 000000006E80: 68224111
	v_add_u32_e64 v17, v17, s56                                // 000000006E84: D1340011 00007111
	s_mul_i32 s56, 0x800, s76                                  // 000000006E8C: 92384CFF 00000800
	s_mul_i32 s56, s2, s56                                     // 000000006E94: 92383802
	v_add_u32_e64 v17, v17, s56                                // 000000006E98: D1340011 00007111
	s_waitcnt lgkmcnt(7)                                       // 000000006EA0: BF8CC77F
	buffer_store_dwordx4 v[92:95], v17, s[8:11], 0 offen       // 000000006EA4: E07C1000 80025C11
	v_add_u32_e32 v17, 0x1000, v17                             // 000000006EAC: 682222FF 00001000
	s_waitcnt lgkmcnt(6)                                       // 000000006EB4: BF8CC67F
	buffer_store_dwordx4 v[96:99], v17, s[8:11], 0 offen       // 000000006EB8: E07C1000 80026011
	v_add_u32_e32 v17, 0x1000, v17                             // 000000006EC0: 682222FF 00001000
	s_waitcnt lgkmcnt(5)                                       // 000000006EC8: BF8CC57F
	buffer_store_dwordx4 v[100:103], v17, s[8:11], 0 offen     // 000000006ECC: E07C1000 80026411
	v_add_u32_e32 v17, 0x1000, v17                             // 000000006ED4: 682222FF 00001000
	s_waitcnt lgkmcnt(4)                                       // 000000006EDC: BF8CC47F
	buffer_store_dwordx4 v[104:107], v17, s[8:11], 0 offen     // 000000006EE0: E07C1000 80026811
	v_add_u32_e32 v17, 0x1000, v17                             // 000000006EE8: 682222FF 00001000
	s_waitcnt lgkmcnt(3)                                       // 000000006EF0: BF8CC37F
	buffer_store_dwordx4 v[108:111], v17, s[8:11], 0 offen     // 000000006EF4: E07C1000 80026C11
	v_add_u32_e32 v17, 0x1000, v17                             // 000000006EFC: 682222FF 00001000
	s_waitcnt lgkmcnt(2)                                       // 000000006F04: BF8CC27F
	buffer_store_dwordx4 v[112:115], v17, s[8:11], 0 offen     // 000000006F08: E07C1000 80027011
	v_add_u32_e32 v17, 0x1000, v17                             // 000000006F10: 682222FF 00001000
	s_waitcnt lgkmcnt(1)                                       // 000000006F18: BF8CC17F
	buffer_store_dwordx4 v[116:119], v17, s[8:11], 0 offen     // 000000006F1C: E07C1000 80027411
	v_add_u32_e32 v17, 0x1000, v17                             // 000000006F24: 682222FF 00001000
	s_waitcnt lgkmcnt(0)                                       // 000000006F2C: BF8CC07F
	buffer_store_dwordx4 v[120:123], v17, s[8:11], 0 offen     // 000000006F30: E07C1000 80027811
	v_add_u32_e32 v17, 0x1000, v17                             // 000000006F38: 682222FF 00001000
	buffer_store_dword v42, v16, s[12:15], 0 offen             // 000000006F40: E0701000 80032A10

0000000000006f48 <label_1334>:
	s_waitcnt vmcnt(0) expcnt(0) lgkmcnt(0)                    // 000000006F48: BF8C0000
	s_endpgm                                                   // 000000006F4C: BF810000
